;; amdgpu-corpus repo=ROCm/rocFFT kind=compiled arch=gfx950 opt=O3
	.text
	.amdgcn_target "amdgcn-amd-amdhsa--gfx950"
	.amdhsa_code_object_version 6
	.protected	fft_rtc_back_len4050_factors_10_5_3_3_3_3_wgs_135_tpt_135_halfLds_sp_op_CI_CI_sbrr_dirReg ; -- Begin function fft_rtc_back_len4050_factors_10_5_3_3_3_3_wgs_135_tpt_135_halfLds_sp_op_CI_CI_sbrr_dirReg
	.globl	fft_rtc_back_len4050_factors_10_5_3_3_3_3_wgs_135_tpt_135_halfLds_sp_op_CI_CI_sbrr_dirReg
	.p2align	8
	.type	fft_rtc_back_len4050_factors_10_5_3_3_3_3_wgs_135_tpt_135_halfLds_sp_op_CI_CI_sbrr_dirReg,@function
fft_rtc_back_len4050_factors_10_5_3_3_3_3_wgs_135_tpt_135_halfLds_sp_op_CI_CI_sbrr_dirReg: ; @fft_rtc_back_len4050_factors_10_5_3_3_3_3_wgs_135_tpt_135_halfLds_sp_op_CI_CI_sbrr_dirReg
; %bb.0:
	s_load_dwordx4 s[12:15], s[0:1], 0x18
	s_load_dwordx4 s[8:11], s[0:1], 0x0
	;; [unrolled: 1-line block ×3, first 2 shown]
	v_mul_u32_u24_e32 v1, 0x1e6, v0
	v_add_u32_sdwa v4, s2, v1 dst_sel:DWORD dst_unused:UNUSED_PAD src0_sel:DWORD src1_sel:WORD_1
	s_waitcnt lgkmcnt(0)
	s_load_dwordx2 s[18:19], s[12:13], 0x0
	s_load_dwordx2 s[16:17], s[14:15], 0x0
	v_mov_b32_e32 v2, 0
	v_cmp_lt_u64_e64 s[2:3], s[10:11], 2
	v_mov_b32_e32 v5, v2
	s_and_b64 vcc, exec, s[2:3]
	v_mov_b64_e32 v[70:71], 0
	s_cbranch_vccnz .LBB0_8
; %bb.1:
	s_load_dwordx2 s[2:3], s[0:1], 0x10
	s_add_u32 s20, s14, 8
	s_addc_u32 s21, s15, 0
	s_add_u32 s22, s12, 8
	s_addc_u32 s23, s13, 0
	s_waitcnt lgkmcnt(0)
	s_add_u32 s24, s2, 8
	v_mov_b64_e32 v[70:71], 0
	s_addc_u32 s25, s3, 0
	s_mov_b64 s[26:27], 1
	v_mov_b64_e32 v[20:21], v[70:71]
.LBB0_2:                                ; =>This Inner Loop Header: Depth=1
	s_load_dwordx2 s[28:29], s[24:25], 0x0
                                        ; implicit-def: $vgpr22_vgpr23
	s_waitcnt lgkmcnt(0)
	v_or_b32_e32 v3, s29, v5
	v_cmp_ne_u64_e32 vcc, 0, v[2:3]
	s_and_saveexec_b64 s[2:3], vcc
	s_xor_b64 s[30:31], exec, s[2:3]
	s_cbranch_execz .LBB0_4
; %bb.3:                                ;   in Loop: Header=BB0_2 Depth=1
	v_cvt_f32_u32_e32 v1, s28
	v_cvt_f32_u32_e32 v3, s29
	s_sub_u32 s2, 0, s28
	s_subb_u32 s3, 0, s29
	v_fmac_f32_e32 v1, 0x4f800000, v3
	v_rcp_f32_e32 v1, v1
	s_nop 0
	v_mul_f32_e32 v1, 0x5f7ffffc, v1
	v_mul_f32_e32 v3, 0x2f800000, v1
	v_trunc_f32_e32 v3, v3
	v_fmac_f32_e32 v1, 0xcf800000, v3
	v_cvt_u32_f32_e32 v3, v3
	v_cvt_u32_f32_e32 v1, v1
	v_mul_lo_u32 v6, s2, v3
	v_mul_hi_u32 v8, s2, v1
	v_mul_lo_u32 v7, s3, v1
	v_add_u32_e32 v8, v8, v6
	v_mul_lo_u32 v10, s2, v1
	v_add_u32_e32 v11, v8, v7
	v_mul_hi_u32 v6, v1, v10
	v_mul_hi_u32 v9, v1, v11
	v_mul_lo_u32 v8, v1, v11
	v_mov_b32_e32 v7, v2
	v_lshl_add_u64 v[6:7], v[6:7], 0, v[8:9]
	v_mul_hi_u32 v9, v3, v10
	v_mul_lo_u32 v10, v3, v10
	v_add_co_u32_e32 v6, vcc, v6, v10
	v_mul_hi_u32 v8, v3, v11
	s_nop 0
	v_addc_co_u32_e32 v6, vcc, v7, v9, vcc
	v_mov_b32_e32 v7, v2
	s_nop 0
	v_addc_co_u32_e32 v9, vcc, 0, v8, vcc
	v_mul_lo_u32 v8, v3, v11
	v_lshl_add_u64 v[6:7], v[6:7], 0, v[8:9]
	v_add_co_u32_e32 v1, vcc, v1, v6
	v_mul_lo_u32 v8, s2, v1
	s_nop 0
	v_addc_co_u32_e32 v3, vcc, v3, v7, vcc
	v_mul_lo_u32 v6, s2, v3
	v_mul_hi_u32 v7, s2, v1
	v_add_u32_e32 v6, v7, v6
	v_mul_lo_u32 v7, s3, v1
	v_add_u32_e32 v10, v6, v7
	v_mul_hi_u32 v12, v3, v8
	v_mul_lo_u32 v13, v3, v8
	v_mul_hi_u32 v7, v1, v10
	v_mul_lo_u32 v6, v1, v10
	v_mul_hi_u32 v8, v1, v8
	v_mov_b32_e32 v9, v2
	v_lshl_add_u64 v[6:7], v[8:9], 0, v[6:7]
	v_add_co_u32_e32 v6, vcc, v6, v13
	v_mul_hi_u32 v11, v3, v10
	s_nop 0
	v_addc_co_u32_e32 v6, vcc, v7, v12, vcc
	v_mul_lo_u32 v8, v3, v10
	s_nop 0
	v_addc_co_u32_e32 v9, vcc, 0, v11, vcc
	v_mov_b32_e32 v7, v2
	v_lshl_add_u64 v[6:7], v[6:7], 0, v[8:9]
	v_add_co_u32_e32 v1, vcc, v1, v6
	v_mul_hi_u32 v8, v4, v1
	s_nop 0
	v_addc_co_u32_e32 v3, vcc, v3, v7, vcc
	v_mad_u64_u32 v[6:7], s[2:3], v4, v3, 0
	v_mov_b32_e32 v9, v2
	v_lshl_add_u64 v[6:7], v[8:9], 0, v[6:7]
	v_mad_u64_u32 v[10:11], s[2:3], v5, v1, 0
	v_add_co_u32_e32 v1, vcc, v6, v10
	v_mad_u64_u32 v[8:9], s[2:3], v5, v3, 0
	s_nop 0
	v_addc_co_u32_e32 v6, vcc, v7, v11, vcc
	v_mov_b32_e32 v7, v2
	s_nop 0
	v_addc_co_u32_e32 v9, vcc, 0, v9, vcc
	v_lshl_add_u64 v[6:7], v[6:7], 0, v[8:9]
	v_mul_lo_u32 v1, s29, v6
	v_mul_lo_u32 v3, s28, v7
	v_mad_u64_u32 v[8:9], s[2:3], s28, v6, 0
	v_add3_u32 v1, v9, v3, v1
	v_sub_u32_e32 v3, v5, v1
	v_mov_b32_e32 v9, s29
	v_sub_co_u32_e32 v12, vcc, v4, v8
	v_lshl_add_u64 v[10:11], v[6:7], 0, 1
	s_nop 0
	v_subb_co_u32_e64 v3, s[2:3], v3, v9, vcc
	v_subrev_co_u32_e64 v8, s[2:3], s28, v12
	v_subb_co_u32_e32 v1, vcc, v5, v1, vcc
	s_nop 0
	v_subbrev_co_u32_e64 v3, s[2:3], 0, v3, s[2:3]
	v_cmp_le_u32_e64 s[2:3], s29, v3
	v_cmp_le_u32_e32 vcc, s29, v1
	s_nop 0
	v_cndmask_b32_e64 v9, 0, -1, s[2:3]
	v_cmp_le_u32_e64 s[2:3], s28, v8
	s_nop 1
	v_cndmask_b32_e64 v8, 0, -1, s[2:3]
	v_cmp_eq_u32_e64 s[2:3], s29, v3
	s_nop 1
	v_cndmask_b32_e64 v3, v9, v8, s[2:3]
	v_lshl_add_u64 v[8:9], v[6:7], 0, 2
	v_cmp_ne_u32_e64 s[2:3], 0, v3
	s_nop 1
	v_cndmask_b32_e64 v3, v11, v9, s[2:3]
	v_cndmask_b32_e64 v9, 0, -1, vcc
	v_cmp_le_u32_e32 vcc, s28, v12
	s_nop 1
	v_cndmask_b32_e64 v11, 0, -1, vcc
	v_cmp_eq_u32_e32 vcc, s29, v1
	s_nop 1
	v_cndmask_b32_e32 v1, v9, v11, vcc
	v_cmp_ne_u32_e32 vcc, 0, v1
	v_cndmask_b32_e64 v1, v10, v8, s[2:3]
	s_nop 0
	v_cndmask_b32_e32 v23, v7, v3, vcc
	v_cndmask_b32_e32 v22, v6, v1, vcc
.LBB0_4:                                ;   in Loop: Header=BB0_2 Depth=1
	s_andn2_saveexec_b64 s[2:3], s[30:31]
	s_cbranch_execz .LBB0_6
; %bb.5:                                ;   in Loop: Header=BB0_2 Depth=1
	v_cvt_f32_u32_e32 v1, s28
	s_sub_i32 s30, 0, s28
	v_mov_b32_e32 v23, v2
	v_rcp_iflag_f32_e32 v1, v1
	s_nop 0
	v_mul_f32_e32 v1, 0x4f7ffffe, v1
	v_cvt_u32_f32_e32 v1, v1
	v_mul_lo_u32 v3, s30, v1
	v_mul_hi_u32 v3, v1, v3
	v_add_u32_e32 v1, v1, v3
	v_mul_hi_u32 v1, v4, v1
	v_mul_lo_u32 v3, v1, s28
	v_sub_u32_e32 v3, v4, v3
	v_add_u32_e32 v6, 1, v1
	v_subrev_u32_e32 v7, s28, v3
	v_cmp_le_u32_e32 vcc, s28, v3
	s_nop 1
	v_cndmask_b32_e32 v3, v3, v7, vcc
	v_cndmask_b32_e32 v1, v1, v6, vcc
	v_add_u32_e32 v6, 1, v1
	v_cmp_le_u32_e32 vcc, s28, v3
	s_nop 1
	v_cndmask_b32_e32 v22, v1, v6, vcc
.LBB0_6:                                ;   in Loop: Header=BB0_2 Depth=1
	s_or_b64 exec, exec, s[2:3]
	v_mad_u64_u32 v[6:7], s[2:3], v22, s28, 0
	s_load_dwordx2 s[2:3], s[22:23], 0x0
	v_mul_lo_u32 v1, v23, s28
	v_mul_lo_u32 v3, v22, s29
	s_load_dwordx2 s[28:29], s[20:21], 0x0
	s_add_u32 s26, s26, 1
	v_add3_u32 v1, v7, v3, v1
	v_sub_co_u32_e32 v3, vcc, v4, v6
	s_addc_u32 s27, s27, 0
	s_nop 0
	v_subb_co_u32_e32 v1, vcc, v5, v1, vcc
	s_add_u32 s20, s20, 8
	s_waitcnt lgkmcnt(0)
	v_mul_lo_u32 v4, s2, v1
	v_mul_lo_u32 v5, s3, v3
	v_mad_u64_u32 v[70:71], s[2:3], s2, v3, v[70:71]
	s_addc_u32 s21, s21, 0
	v_add3_u32 v71, v5, v71, v4
	v_mul_lo_u32 v1, s28, v1
	v_mul_lo_u32 v4, s29, v3
	v_mad_u64_u32 v[20:21], s[2:3], s28, v3, v[20:21]
	s_add_u32 s22, s22, 8
	v_add3_u32 v21, v4, v21, v1
	s_addc_u32 s23, s23, 0
	v_mov_b64_e32 v[4:5], s[10:11]
	s_add_u32 s24, s24, 8
	v_cmp_ge_u64_e32 vcc, s[26:27], v[4:5]
	s_addc_u32 s25, s25, 0
	s_cbranch_vccnz .LBB0_9
; %bb.7:                                ;   in Loop: Header=BB0_2 Depth=1
	v_mov_b64_e32 v[4:5], v[22:23]
	s_branch .LBB0_2
.LBB0_8:
	v_mov_b64_e32 v[20:21], v[70:71]
	v_mov_b64_e32 v[22:23], v[4:5]
.LBB0_9:
	s_load_dwordx2 s[0:1], s[0:1], 0x28
	s_lshl_b64 s[10:11], s[10:11], 3
	s_add_u32 s2, s14, s10
	s_addc_u32 s3, s15, s11
                                        ; implicit-def: $vgpr30_vgpr31
                                        ; implicit-def: $vgpr26_vgpr27
                                        ; implicit-def: $vgpr24_vgpr25
                                        ; implicit-def: $vgpr28_vgpr29
                                        ; implicit-def: $vgpr138
                                        ; implicit-def: $vgpr139
	s_waitcnt lgkmcnt(0)
	v_cmp_gt_u64_e32 vcc, s[0:1], v[22:23]
	v_cmp_le_u64_e64 s[0:1], s[0:1], v[22:23]
	s_and_saveexec_b64 s[14:15], s[0:1]
	s_xor_b64 s[0:1], exec, s[14:15]
	s_cbranch_execz .LBB0_11
; %bb.10:
	s_mov_b32 s14, 0x1e573ad
	v_mul_hi_u32 v1, v0, s14
	v_mul_u32_u24_e32 v1, 0x87, v1
	v_sub_u32_e32 v138, v0, v1
	v_add_u32_e32 v29, 0x87, v138
	v_add_u32_e32 v28, 0x10e, v138
	;; [unrolled: 1-line block ×9, first 2 shown]
                                        ; implicit-def: $vgpr0
                                        ; implicit-def: $vgpr70_vgpr71
.LBB0_11:
	s_or_saveexec_b64 s[0:1], s[0:1]
                                        ; implicit-def: $vgpr14
                                        ; implicit-def: $vgpr52
                                        ; implicit-def: $vgpr18
                                        ; implicit-def: $vgpr78
                                        ; implicit-def: $vgpr58
                                        ; implicit-def: $vgpr72
                                        ; implicit-def: $vgpr10
                                        ; implicit-def: $vgpr46
                                        ; implicit-def: $vgpr44
                                        ; implicit-def: $vgpr48
                                        ; implicit-def: $vgpr50
                                        ; implicit-def: $vgpr16
                                        ; implicit-def: $vgpr64
                                        ; implicit-def: $vgpr62
                                        ; implicit-def: $vgpr66
                                        ; implicit-def: $vgpr68
                                        ; implicit-def: $vgpr54
                                        ; implicit-def: $vgpr94
                                        ; implicit-def: $vgpr84
                                        ; implicit-def: $vgpr90
                                        ; implicit-def: $vgpr92
                                        ; implicit-def: $vgpr2
                                        ; implicit-def: $vgpr6
                                        ; implicit-def: $vgpr34
                                        ; implicit-def: $vgpr4
                                        ; implicit-def: $vgpr12
                                        ; implicit-def: $vgpr42
                                        ; implicit-def: $vgpr56
                                        ; implicit-def: $vgpr8
                                        ; implicit-def: $vgpr32
                                        ; implicit-def: $vgpr40
                                        ; implicit-def: $vgpr74
                                        ; implicit-def: $vgpr38
                                        ; implicit-def: $vgpr60
                                        ; implicit-def: $vgpr36
                                        ; implicit-def: $vgpr96
	s_xor_b64 exec, exec, s[0:1]
	s_cbranch_execz .LBB0_13
; %bb.12:
	s_add_u32 s10, s12, s10
	s_addc_u32 s11, s13, s11
	s_load_dwordx2 s[10:11], s[10:11], 0x0
	s_mov_b32 s12, 0x1e573ad
	s_waitcnt lgkmcnt(0)
	v_mul_lo_u32 v1, s11, v22
	v_mul_lo_u32 v2, s10, v23
	v_mad_u64_u32 v[4:5], s[10:11], s10, v22, 0
	v_add3_u32 v5, v5, v2, v1
	v_mul_hi_u32 v1, v0, s12
	v_mul_u32_u24_e32 v1, 0x87, v1
	v_sub_u32_e32 v138, v0, v1
	v_mad_u64_u32 v[2:3], s[10:11], s18, v138, 0
	v_mov_b32_e32 v0, v3
	v_mad_u64_u32 v[0:1], s[10:11], s19, v138, v[0:1]
	v_add_u32_e32 v7, 0x654, v138
	v_mov_b32_e32 v3, v0
	v_lshl_add_u64 v[0:1], v[4:5], 3, s[4:5]
	v_mad_u64_u32 v[4:5], s[4:5], s18, v7, 0
	v_mov_b32_e32 v6, v5
	v_mad_u64_u32 v[6:7], s[4:5], s19, v7, v[6:7]
	v_add_u32_e32 v9, 0x7e9, v138
	v_mov_b32_e32 v5, v6
	v_mad_u64_u32 v[6:7], s[4:5], s18, v9, 0
	v_mov_b32_e32 v8, v7
	v_mad_u64_u32 v[8:9], s[4:5], s19, v9, v[8:9]
	v_add_u32_e32 v11, 0x97e, v138
	v_mov_b32_e32 v7, v8
	v_mad_u64_u32 v[8:9], s[4:5], s18, v11, 0
	v_mov_b32_e32 v10, v9
	v_mad_u64_u32 v[10:11], s[4:5], s19, v11, v[10:11]
	v_add_u32_e32 v11, 0xb13, v138
	v_mad_u64_u32 v[12:13], s[4:5], s18, v11, 0
	v_mov_b32_e32 v9, v10
	v_mov_b32_e32 v10, v13
	v_mad_u64_u32 v[10:11], s[4:5], s19, v11, v[10:11]
	v_add_u32_e32 v11, 0xca8, v138
	v_mad_u64_u32 v[14:15], s[4:5], s18, v11, 0
	v_mov_b32_e32 v13, v10
	;; [unrolled: 5-line block ×3, first 2 shown]
	v_mov_b32_e32 v10, v17
	v_add_u32_e32 v25, 0x195, v138
	v_mad_u64_u32 v[10:11], s[4:5], s19, v11, v[10:11]
	v_mad_u64_u32 v[18:19], s[4:5], s18, v25, 0
	v_mov_b32_e32 v17, v10
	v_add_u32_e32 v24, 0x21c, v138
	v_mov_b32_e32 v10, v19
	v_mad_u64_u32 v[10:11], s[4:5], s19, v25, v[10:11]
	v_mad_u64_u32 v[32:33], s[4:5], s18, v24, 0
	v_mov_b32_e32 v19, v10
	v_mov_b32_e32 v10, v33
	v_mad_u64_u32 v[10:11], s[4:5], s19, v24, v[10:11]
	v_add_u32_e32 v26, 0x32a, v138
	v_mov_b32_e32 v33, v10
	v_mad_u64_u32 v[10:11], s[4:5], s18, v26, 0
	v_mov_b32_e32 v28, v11
	v_add_u32_e32 v27, 0x3b1, v138
	v_mad_u64_u32 v[28:29], s[4:5], s19, v26, v[28:29]
	v_mov_b32_e32 v11, v28
	v_mad_u64_u32 v[28:29], s[4:5], s18, v27, 0
	v_mov_b32_e32 v30, v29
	v_mad_u64_u32 v[30:31], s[4:5], s19, v27, v[30:31]
	v_lshl_add_u64 v[0:1], v[70:71], 3, v[0:1]
	v_mov_b32_e32 v29, v30
	v_lshl_add_u64 v[38:39], v[28:29], 3, v[0:1]
	v_add_u32_e32 v29, 0x546, v138
	v_mad_u64_u32 v[34:35], s[4:5], s18, v29, 0
	v_mov_b32_e32 v28, v35
	v_mad_u64_u32 v[28:29], s[4:5], s19, v29, v[28:29]
	v_add_u32_e32 v29, 0x6db, v138
	v_mad_u64_u32 v[36:37], s[4:5], s18, v29, 0
	v_mov_b32_e32 v35, v28
	v_mov_b32_e32 v28, v37
	v_mad_u64_u32 v[28:29], s[4:5], s19, v29, v[28:29]
	v_add_u32_e32 v29, 0x870, v138
	v_mad_u64_u32 v[40:41], s[4:5], s18, v29, 0
	v_mov_b32_e32 v37, v28
	;; [unrolled: 5-line block ×7, first 2 shown]
	v_add_u32_e32 v28, 0x10e, v138
	v_mov_b32_e32 v30, v51
	v_mad_u64_u32 v[30:31], s[4:5], s19, v29, v[30:31]
	v_mad_u64_u32 v[52:53], s[4:5], s18, v28, 0
	v_mov_b32_e32 v51, v30
	v_mov_b32_e32 v30, v53
	v_add_u32_e32 v139, 0x2a3, v138
	v_mad_u64_u32 v[30:31], s[4:5], s19, v28, v[30:31]
	v_mad_u64_u32 v[54:55], s[4:5], s18, v139, 0
	v_mov_b32_e32 v53, v30
	v_mov_b32_e32 v30, v55
	v_mad_u64_u32 v[30:31], s[4:5], s19, v139, v[30:31]
	v_add_u32_e32 v31, 0x4bf, v138
	v_mad_u64_u32 v[56:57], s[4:5], s18, v31, 0
	v_mov_b32_e32 v58, v57
	v_mov_b32_e32 v55, v30
	v_add_u32_e32 v30, 0x438, v138
	v_mad_u64_u32 v[58:59], s[4:5], s19, v31, v[58:59]
	v_mov_b32_e32 v57, v58
	v_mad_u64_u32 v[58:59], s[4:5], s18, v30, 0
	v_mov_b32_e32 v60, v59
	v_mad_u64_u32 v[60:61], s[4:5], s19, v30, v[60:61]
	v_add_u32_e32 v63, 0x5cd, v138
	v_mov_b32_e32 v59, v60
	v_mad_u64_u32 v[60:61], s[4:5], s18, v63, 0
	v_mov_b32_e32 v62, v61
	v_mad_u64_u32 v[62:63], s[4:5], s19, v63, v[62:63]
	v_add_u32_e32 v65, 0x762, v138
	;; [unrolled: 5-line block ×7, first 2 shown]
	v_mov_b32_e32 v71, v72
	v_mad_u64_u32 v[72:73], s[4:5], s18, v75, 0
	v_mov_b32_e32 v74, v73
	v_mad_u64_u32 v[74:75], s[4:5], s19, v75, v[74:75]
	v_mov_b32_e32 v73, v74
	v_lshl_add_u64 v[74:75], v[2:3], 3, v[0:1]
	v_lshl_add_u64 v[4:5], v[4:5], 3, v[0:1]
	;; [unrolled: 1-line block ×29, first 2 shown]
	global_load_dwordx2 v[2:3], v[50:51], off
	global_load_dwordx2 v[108:109], v[58:59], off
	;; [unrolled: 1-line block ×15, first 2 shown]
                                        ; kill: killed $vgpr80_vgpr81
                                        ; kill: killed $vgpr4_vgpr5
                                        ; kill: killed $vgpr16_vgpr17
                                        ; kill: killed $vgpr44_vgpr45
                                        ; kill: killed $vgpr76_vgpr77
                                        ; kill: killed $vgpr38_vgpr39
                                        ; kill: killed $vgpr48_vgpr49
                                        ; kill: killed $vgpr46_vgpr47
                                        ; kill: killed $vgpr82_vgpr83
                                        ; kill: killed $vgpr18_vgpr19
                                        ; kill: killed $vgpr40_vgpr41
                                        ; kill: killed $vgpr42_vgpr43
                                        ; kill: killed $vgpr58_vgpr59
                                        ; kill: killed $vgpr74_vgpr75
                                        ; kill: killed $vgpr50_vgpr51
	global_load_dwordx2 v[38:39], v[14:15], off
	global_load_dwordx2 v[94:95], v[12:13], off
	;; [unrolled: 1-line block ×15, first 2 shown]
	s_waitcnt vmcnt(29)
	v_mov_b32_e32 v10, v3
	s_waitcnt vmcnt(28)
	v_mov_b32_e32 v3, v108
	;; [unrolled: 2-line block ×4, first 2 shown]
	v_mov_b32_e32 v14, v109
	s_waitcnt vmcnt(20)
	v_mov_b32_e32 v16, v7
	v_mov_b32_e32 v7, v110
	s_waitcnt vmcnt(19)
	v_mov_b32_e32 v32, v9
	s_waitcnt vmcnt(17)
	;; [unrolled: 2-line block ×5, first 2 shown]
	v_mov_b32_e32 v35, v18
	v_mov_b32_e32 v18, v111
	;; [unrolled: 1-line block ×3, first 2 shown]
	s_waitcnt vmcnt(5)
	v_mov_b32_e32 v12, v5
.LBB0_13:
	s_or_b64 exec, exec, s[0:1]
	s_mov_b32 s0, 0x3f737871
	v_mov_b32_e32 v59, v97
	v_mov_b32_e32 v61, v37
	s_mov_b32 s1, 0x3f167918
	v_pk_add_f32 v[80:81], v[36:37], v[96:97]
	v_add_f32_e32 v0, v38, v35
	s_mov_b32 s4, s1
	s_mov_b32 s5, s0
	v_pk_add_f32 v[110:111], v[58:59], v[60:61] neg_lo:[0,1] neg_hi:[0,1]
	v_add_f32_e32 v79, v35, v72
	v_fma_f32 v53, -0.5, v80, v72
	v_fmac_f32_e32 v72, -0.5, v0
	v_pk_mul_f32 v[0:1], v[110:111], s[4:5]
	v_mov_b32_e32 v61, v58
	v_add_f32_e32 v13, v1, v72
	v_sub_f32_e32 v1, v72, v1
	v_mov_b32_e32 v82, v37
	v_mov_b32_e32 v83, v97
	v_sub_f32_e32 v102, v13, v0
	v_add_f32_e32 v103, v0, v1
	v_pk_add_f32 v[0:1], v[60:61], v[82:83] neg_lo:[0,1] neg_hi:[0,1]
	v_mov_b32_e32 v71, v36
	v_mov_b32_e32 v70, v1
	v_pk_add_f32 v[108:109], v[0:1], v[70:71]
	v_mov_b32_e32 v1, v96
	v_pk_add_f32 v[86:87], v[0:1], v[70:71] neg_lo:[0,1] neg_hi:[0,1]
	v_mov_b32_e32 v0, v84
	v_mov_b32_e32 v1, v34
	;; [unrolled: 1-line block ×6, first 2 shown]
	v_pk_add_f32 v[114:115], v[0:1], v[70:71] neg_lo:[0,1] neg_hi:[0,1]
	v_pk_add_f32 v[104:105], v[18:19], v[32:33] neg_lo:[0,1] neg_hi:[0,1]
	v_mov_b32_e32 v33, v18
	v_mov_b32_e32 v70, v41
	;; [unrolled: 1-line block ×3, first 2 shown]
	v_pk_add_f32 v[0:1], v[32:33], v[70:71] neg_lo:[0,1] neg_hi:[0,1]
	v_mov_b32_e32 v73, v40
	v_mov_b32_e32 v72, v1
	v_pk_add_f32 v[120:121], v[0:1], v[72:73]
	v_mov_b32_e32 v1, v74
	v_pk_add_f32 v[76:77], v[0:1], v[72:73] neg_lo:[0,1] neg_hi:[0,1]
	v_mov_b32_e32 v0, v63
	v_mov_b32_e32 v1, v16
	v_mov_b32_e32 v72, v65
	v_mov_b32_e32 v73, v67
	v_pk_add_f32 v[0:1], v[0:1], v[72:73] neg_lo:[0,1] neg_hi:[0,1]
	v_mov_b32_e32 v15, v57
	v_mov_b32_e32 v72, v1
	s_waitcnt vmcnt(2)
	v_mov_b32_e32 v13, v43
	v_pk_add_f32 v[122:123], v[0:1], v[72:73]
	v_pk_add_f32 v[98:99], v[14:15], v[12:13] neg_lo:[0,1] neg_hi:[0,1]
	v_mov_b32_e32 v13, v14
	v_mov_b32_e32 v0, v43
	;; [unrolled: 1-line block ×3, first 2 shown]
	v_pk_add_f32 v[72:73], v[12:13], v[0:1] neg_lo:[0,1] neg_hi:[0,1]
	v_mov_b32_e32 v89, v42
	v_mov_b32_e32 v88, v73
	;; [unrolled: 1-line block ×3, first 2 shown]
	v_pk_add_f32 v[126:127], v[72:73], v[88:89]
	v_pk_add_f32 v[72:73], v[14:15], v[88:89] neg_lo:[0,1] neg_hi:[0,1]
	s_waitcnt vmcnt(0)
	v_mov_b32_e32 v88, v45
	v_mov_b32_e32 v89, v10
	;; [unrolled: 1-line block ×4, first 2 shown]
	v_pk_add_f32 v[88:89], v[88:89], v[100:101] neg_lo:[0,1] neg_hi:[0,1]
	v_pk_add_f32 v[100:101], v[46:47], v[44:45] neg_lo:[0,1] neg_hi:[0,1]
	v_mov_b32_e32 v72, v89
	v_pk_add_f32 v[128:129], v[88:89], v[72:73]
	v_mov_b32_e32 v88, v2
	v_mov_b32_e32 v89, v10
	v_pk_add_f32 v[106:107], v[48:49], v[88:89] neg_lo:[0,1] neg_hi:[0,1]
	v_pk_add_f32 v[132:133], v[48:49], v[46:47] neg_lo:[0,1] neg_hi:[0,1]
	v_pk_add_f32 v[100:101], v[100:101], v[106:107]
	v_pk_add_f32 v[106:107], v[44:45], v[88:89]
	v_pk_mul_f32 v[112:113], v[132:133], s[0:1] op_sel_hi:[1,0]
	v_pk_fma_f32 v[106:107], v[106:107], 0.5, v[50:51] op_sel_hi:[1,0,1] neg_lo:[1,0,0] neg_hi:[1,0,0]
	s_mov_b32 s10, s1
	v_pk_add_f32 v[116:117], v[106:107], v[112:113] op_sel:[0,1] op_sel_hi:[1,0] neg_lo:[0,1] neg_hi:[0,1]
	v_pk_add_f32 v[112:113], v[112:113], v[106:107] op_sel:[1,0] op_sel_hi:[0,1]
	v_pk_add_f32 v[106:107], v[88:89], v[44:45] neg_lo:[0,1] neg_hi:[0,1]
	s_mov_b32 s12, 0x3e9e377a
	v_pk_mul_f32 v[88:89], v[106:107], s[10:11] op_sel_hi:[1,0]
	s_mov_b32 s13, s1
	v_pk_add_f32 v[116:117], v[88:89], v[116:117] op_sel:[1,0] op_sel_hi:[0,1]
	v_pk_add_f32 v[112:113], v[112:113], v[88:89] op_sel:[0,1] op_sel_hi:[1,0] neg_lo:[0,1] neg_hi:[0,1]
	v_pk_fma_f32 v[88:89], v[100:101], s[12:13], v[116:117] op_sel_hi:[1,0,1]
	v_pk_fma_f32 v[112:113], v[100:101], s[12:13], v[112:113] op_sel_hi:[1,0,1]
	v_mov_b32_e32 v100, v6
	v_mov_b32_e32 v101, v16
	v_pk_add_f32 v[116:117], v[64:65], v[62:63] neg_lo:[0,1] neg_hi:[0,1]
	v_pk_add_f32 v[118:119], v[66:67], v[100:101] neg_lo:[0,1] neg_hi:[0,1]
	;; [unrolled: 1-line block ×3, first 2 shown]
	v_pk_add_f32 v[116:117], v[116:117], v[118:119]
	v_pk_add_f32 v[118:119], v[62:63], v[100:101]
	v_pk_mul_f32 v[124:125], v[134:135], s[0:1] op_sel_hi:[1,0]
	v_pk_fma_f32 v[118:119], v[118:119], 0.5, v[68:69] op_sel_hi:[1,0,1] neg_lo:[1,0,0] neg_hi:[1,0,0]
	v_pk_add_f32 v[140:141], v[90:91], v[94:95] neg_lo:[0,1] neg_hi:[0,1]
	v_pk_add_f32 v[130:131], v[118:119], v[124:125] op_sel:[0,1] op_sel_hi:[1,0] neg_lo:[0,1] neg_hi:[0,1]
	v_pk_add_f32 v[118:119], v[124:125], v[118:119] op_sel:[1,0] op_sel_hi:[0,1]
	v_pk_add_f32 v[124:125], v[100:101], v[62:63] neg_lo:[0,1] neg_hi:[0,1]
	v_pk_mul_f32 v[142:143], v[140:141], s[0:1] op_sel_hi:[1,0]
	v_pk_mul_f32 v[100:101], v[124:125], s[10:11] op_sel_hi:[1,0]
	v_mov_b32_e32 v15, v54
	v_pk_add_f32 v[130:131], v[100:101], v[130:131] op_sel:[1,0] op_sel_hi:[0,1]
	v_pk_add_f32 v[118:119], v[118:119], v[100:101] op_sel:[0,1] op_sel_hi:[1,0] neg_lo:[0,1] neg_hi:[0,1]
	v_pk_fma_f32 v[100:101], v[116:117], s[12:13], v[130:131] op_sel_hi:[1,0,1]
	v_pk_fma_f32 v[130:131], v[116:117], s[12:13], v[118:119] op_sel_hi:[1,0,1]
	v_mov_b32_e32 v116, v34
	v_mov_b32_e32 v117, v54
	v_pk_add_f32 v[118:119], v[94:95], v[84:85] neg_lo:[0,1] neg_hi:[0,1]
	v_pk_add_f32 v[136:137], v[90:91], v[116:117] neg_lo:[0,1] neg_hi:[0,1]
	;; [unrolled: 1-line block ×3, first 2 shown]
	v_pk_add_f32 v[136:137], v[118:119], v[136:137]
	v_pk_add_f32 v[118:119], v[84:85], v[116:117]
	v_pk_add_f32 v[116:117], v[116:117], v[84:85] neg_lo:[0,1] neg_hi:[0,1]
	v_pk_fma_f32 v[118:119], v[118:119], 0.5, v[92:93] op_sel_hi:[1,0,1] neg_lo:[1,0,0] neg_hi:[1,0,0]
	v_mov_b32_e32 v39, v35
	v_pk_add_f32 v[144:145], v[118:119], v[142:143] op_sel:[0,1] op_sel_hi:[1,0] neg_lo:[0,1] neg_hi:[0,1]
	v_pk_add_f32 v[118:119], v[142:143], v[118:119] op_sel:[1,0] op_sel_hi:[0,1]
	v_pk_mul_f32 v[142:143], v[116:117], s[10:11] op_sel_hi:[1,0]
	v_pk_mul_f32 v[116:117], v[116:117], s[0:1] op_sel_hi:[1,0]
	v_pk_add_f32 v[144:145], v[142:143], v[144:145] op_sel:[1,0] op_sel_hi:[0,1]
	v_pk_add_f32 v[142:143], v[118:119], v[142:143] op_sel:[0,1] op_sel_hi:[1,0] neg_lo:[0,1] neg_hi:[0,1]
	v_pk_fma_f32 v[118:119], v[136:137], s[12:13], v[144:145] op_sel_hi:[1,0,1]
	v_pk_fma_f32 v[142:143], v[136:137], s[12:13], v[142:143] op_sel_hi:[1,0,1]
	v_pk_add_f32 v[136:137], v[14:15], v[90:91] neg_lo:[0,1] neg_hi:[0,1]
	v_pk_add_f32 v[144:145], v[84:85], v[94:95] neg_lo:[0,1] neg_hi:[0,1]
	v_mov_b32_e32 v136, v115
	v_mov_b32_e32 v144, v114
	v_pk_add_f32 v[114:115], v[144:145], v[136:137]
	v_pk_add_f32 v[136:137], v[94:95], v[90:91]
	v_mov_b32_e32 v109, v87
	v_pk_fma_f32 v[136:137], v[136:137], 0.5, v[92:93] op_sel_hi:[1,0,1] neg_lo:[1,0,0] neg_hi:[1,0,0]
	v_mov_b32_e32 v121, v77
	v_pk_add_f32 v[144:145], v[136:137], v[116:117] op_sel:[0,1] op_sel_hi:[1,0] neg_lo:[0,1] neg_hi:[0,1]
	v_pk_add_f32 v[116:117], v[116:117], v[136:137] op_sel:[1,0] op_sel_hi:[0,1]
	v_pk_mul_f32 v[136:137], v[140:141], s[10:11] op_sel_hi:[1,0]
	v_mov_b32_e32 v123, v134
	v_pk_add_f32 v[140:141], v[144:145], v[136:137] op_sel:[0,1] op_sel_hi:[1,0] neg_lo:[0,1] neg_hi:[0,1]
	v_pk_add_f32 v[116:117], v[136:137], v[116:117] op_sel:[1,0] op_sel_hi:[0,1]
	v_pk_mul_f32 v[144:145], v[114:115], s[12:13] op_sel_hi:[1,0]
	s_mov_b32 s10, s0
	v_add_f32_e32 v19, v145, v117
	v_mov_b32_e32 v117, v141
	v_pk_fma_f32 v[114:115], v[114:115], s[12:13], v[116:117] op_sel_hi:[1,0,1]
	v_mov_b32_e32 v116, v36
	v_mov_b32_e32 v117, v96
	v_pk_add_f32 v[116:117], v[116:117], v[38:39] neg_lo:[0,1] neg_hi:[0,1]
	s_mov_b32 s11, s12
	v_add_f32_e32 v15, v116, v117
	v_mul_f32_e32 v72, 0x3e9e377a, v15
	v_pk_mul_f32 v[116:117], v[108:109], s[12:13]
	v_pk_mul_f32 v[108:109], v[120:121], s[12:13]
	;; [unrolled: 1-line block ×3, first 2 shown]
	v_mov_b32_e32 v127, v73
	v_mov_b32_e32 v129, v132
	;; [unrolled: 1-line block ×3, first 2 shown]
	v_pk_mul_f32 v[120:121], v[142:143], s[10:11]
	v_mov_b32_e32 v142, v119
	v_pk_add_f32 v[148:149], v[72:73], v[102:103] op_sel_hi:[0,1]
	v_pk_mul_f32 v[102:103], v[126:127], s[12:13]
	v_pk_mul_f32 v[126:127], v[128:129], s[12:13]
	v_mov_b32_e32 v123, v118
	s_mov_b32 s13, 0xbe9e377a
	v_pk_mul_f32 v[128:129], v[142:143], s[0:1] op_sel_hi:[1,0]
	v_mov_b32_e32 v72, v93
	v_mov_b32_e32 v80, v93
	;; [unrolled: 1-line block ×3, first 2 shown]
	v_pk_fma_f32 v[142:143], v[122:123], s[12:13], v[128:129] neg_lo:[0,0,1] neg_hi:[0,0,1]
	v_mov_b32_e32 v128, v97
	v_add_f32_e32 v15, v96, v79
	v_pk_add_f32 v[96:97], v[34:35], v[92:93]
	v_pk_add_f32 v[92:93], v[34:35], v[92:93] neg_lo:[0,1] neg_hi:[0,1]
	v_mov_b32_e32 v123, v140
	v_add_f32_e32 v122, v58, v55
	v_mov_b32_e32 v129, v144
	v_mov_b32_e32 v97, v93
	;; [unrolled: 1-line block ×4, first 2 shown]
	v_pk_add_f32 v[132:133], v[46:47], v[48:49]
	v_pk_add_f32 v[122:123], v[128:129], v[122:123]
	v_mov_b32_e32 v34, v91
	v_mov_b32_e32 v91, v146
	v_fma_f32 v79, -0.5, v132, v50
	v_pk_mul_f32 v[128:129], v[92:93], s[0:1]
	v_pk_add_f32 v[90:91], v[90:91], v[96:97]
	v_sub_f32_e32 v59, v79, v128
	v_mov_b32_e32 v97, v128
	v_mov_b32_e32 v128, 0x3e9e377a
	v_pk_mul_f32 v[110:111], v[110:111], s[0:1]
	v_mov_b32_e32 v86, v95
	v_mov_b32_e32 v95, v128
	v_sub_f32_e32 v39, v53, v110
	v_pk_add_f32 v[140:141], v[94:95], v[90:91]
	v_pk_mul_f32 v[90:91], v[94:95], v[90:91]
	v_sub_f32_e32 v39, v39, v111
	v_mov_b32_e32 v94, v85
	v_mov_b32_e32 v85, v39
	;; [unrolled: 1-line block ×3, first 2 shown]
	v_pk_add_f32 v[84:85], v[84:85], v[140:141]
	v_mul_f32_e32 v39, 0x3f167918, v19
	v_add_f32_e32 v140, v36, v15
	v_mul_f32_e32 v141, 0x3f4f1bbd, v123
	v_add_f32_e32 v36, v110, v53
	v_pk_add_f32 v[144:145], v[140:141], v[38:39]
	v_pk_add_f32 v[140:141], v[140:141], v[38:39] neg_lo:[0,1] neg_hi:[0,1]
	v_add_f32_e32 v36, v111, v36
	s_mov_b32 s14, 0xbf4f1bbd
	s_mov_b32 s15, s1
	v_mov_b32_e32 v140, v144
	v_add_f32_e32 v36, v91, v36
	v_pk_mul_f32 v[90:91], v[114:115], s[14:15]
	v_pk_add_f32 v[150:151], v[84:85], v[140:141]
	v_pk_add_f32 v[110:111], v[144:145], v[84:85] neg_lo:[0,1] neg_hi:[0,1]
	v_mov_b32_e32 v84, v85
	v_mov_b32_e32 v85, v148
	;; [unrolled: 1-line block ×5, first 2 shown]
	v_pk_add_f32 v[84:85], v[84:85], v[140:141] neg_lo:[0,1] neg_hi:[0,1]
	v_pk_fma_f32 v[140:141], v[114:115], s[14:15], v[76:77] neg_lo:[0,0,1] neg_hi:[0,0,1]
	v_mad_u32_u24 v15, v138, 40, 0
	v_pk_add_f32 v[90:91], v[36:37], v[140:141]
	v_add_f32_e32 v53, v8, v7
	v_mov_b32_e32 v91, v110
	ds_write2_b64 v15, v[90:91], v[84:85] offset0:2 offset1:3
	v_pk_add_f32 v[84:85], v[40:41], v[74:75]
	v_add_f32_e32 v39, v7, v78
	v_fma_f32 v95, -0.5, v84, v78
	v_fmac_f32_e32 v78, -0.5, v53
	v_pk_mul_f32 v[90:91], v[104:105], s[4:5]
	v_pk_add_f32 v[146:147], v[148:149], v[142:143]
	v_add_f32_e32 v53, v91, v78
	v_sub_f32_e32 v76, v78, v91
	v_sub_f32_e32 v110, v53, v90
	v_add_f32_e32 v111, v90, v76
	v_mov_b32_e32 v90, v62
	v_mov_b32_e32 v91, v6
	;; [unrolled: 1-line block ×4, first 2 shown]
	ds_write2_b64 v15, v[150:151], v[146:147] offset1:1
	v_pk_add_f32 v[90:91], v[90:91], v[144:145] neg_lo:[0,1] neg_hi:[0,1]
	v_mov_b32_e32 v144, v44
	v_mov_b32_e32 v145, v2
	;; [unrolled: 1-line block ×4, first 2 shown]
	v_pk_add_f32 v[144:145], v[144:145], v[146:147] neg_lo:[0,1] neg_hi:[0,1]
	v_mov_b32_e32 v134, v125
	v_mov_b32_e32 v96, v144
	;; [unrolled: 1-line block ×3, first 2 shown]
	v_pk_add_f32 v[144:145], v[64:65], v[66:67]
	v_pk_mul_f32 v[146:147], v[134:135], s[0:1]
	v_pk_add_f32 v[96:97], v[96:97], v[78:79]
	v_fma_f32 v79, -0.5, v144, v68
	v_mov_b32_e32 v78, v91
	v_mov_b32_e32 v91, v146
	v_pk_add_f32 v[150:151], v[90:91], v[78:79]
	v_sub_f32_e32 v84, v79, v146
	v_pk_fma_f32 v[78:79], v[92:93], s[0:1], v[96:97]
	v_sub_f32_e32 v53, v59, v129
	v_mov_b32_e32 v76, v79
	v_pk_fma_f32 v[78:79], v[128:129], v[96:97], v[76:77]
	v_pk_mul_f32 v[96:97], v[128:129], v[96:97]
	v_mov_b32_e32 v129, v147
	v_pk_mul_f32 v[92:93], v[128:129], v[150:151]
	v_sub_f32_e32 v91, v84, v147
	v_add_f32_e32 v90, v18, v17
	v_mov_b32_e32 v93, v92
	v_mov_b32_e32 v92, v75
	v_pk_add_f32 v[90:91], v[92:93], v[90:91]
	v_mov_b32_e32 v92, v149
	v_mov_b32_e32 v93, v36
	;; [unrolled: 1-line block ×4, first 2 shown]
	v_pk_add_f32 v[92:93], v[92:93], v[142:143] neg_lo:[0,1] neg_hi:[0,1]
	ds_write_b64 v15, v[92:93] offset:32
	v_mov_b32_e32 v92, v40
	v_mov_b32_e32 v93, v74
	v_pk_add_f32 v[140:141], v[8:9], v[40:41] neg_lo:[0,1] neg_hi:[0,1]
	v_mov_b32_e32 v9, v7
	v_pk_add_f32 v[92:93], v[92:93], v[8:9] neg_lo:[0,1] neg_hi:[0,1]
	v_fma_f32 v59, -0.5, v145, v69
	v_add_f32_e32 v9, v92, v93
	v_mul_f32_e32 v36, 0x3e9e377a, v9
	v_mov_b32_e32 v76, v69
	v_mov_b32_e32 v84, v69
	;; [unrolled: 1-line block ×3, first 2 shown]
	v_pk_add_f32 v[110:111], v[36:37], v[110:111] op_sel_hi:[0,1]
	v_add_f32_e32 v36, v74, v39
	v_pk_add_f32 v[74:75], v[6:7], v[68:69]
	v_pk_add_f32 v[68:69], v[6:7], v[68:69] neg_lo:[0,1] neg_hi:[0,1]
	v_mov_b32_e32 v6, v67
	v_mov_b32_e32 v75, v69
	;; [unrolled: 1-line block ×3, first 2 shown]
	v_pk_add_f32 v[68:69], v[66:67], v[74:75]
	v_mov_b32_e32 v66, v65
	v_mov_b32_e32 v65, v128
	v_pk_add_f32 v[74:75], v[64:65], v[68:69]
	v_pk_mul_f32 v[64:65], v[64:65], v[68:69]
	v_pk_mul_f32 v[68:69], v[104:105], s[0:1]
	v_mov_b32_e32 v64, v63
	v_sub_f32_e32 v9, v95, v68
	v_sub_f32_e32 v9, v9, v69
	v_mov_b32_e32 v63, v9
	v_fmamk_f32 v9, v124, 0x3f737871, v59
	v_add_f32_e32 v9, v137, v9
	v_mov_b32_e32 v75, v65
	v_add_f32_e32 v146, v136, v9
	v_mov_b32_e32 v142, v130
	v_pk_mul_f32 v[92:93], v[130:131], s[10:11]
	v_mov_b32_e32 v130, v101
	v_pk_add_f32 v[62:63], v[62:63], v[74:75]
	v_mul_f32_e32 v9, 0x3f167918, v146
	v_add_f32_e32 v74, v40, v36
	v_mul_f32_e32 v75, 0x3f4f1bbd, v91
	v_mov_b32_e32 v143, v100
	v_pk_mul_f32 v[130:131], v[130:131], s[0:1] op_sel_hi:[1,0]
	v_pk_add_f32 v[104:105], v[74:75], v[8:9]
	v_pk_add_f32 v[140:141], v[74:75], v[8:9] neg_lo:[0,1] neg_hi:[0,1]
	v_add_f32_e32 v9, v68, v95
	v_pk_fma_f32 v[130:131], v[142:143], s[12:13], v[130:131] neg_lo:[0,0,1] neg_hi:[0,0,1]
	v_mov_b32_e32 v105, v141
	v_add_f32_e32 v9, v69, v9
	v_pk_fma_f32 v[68:69], v[134:135], s[0:1], v[150:151]
	v_mad_i32_i24 v79, v29, 40, 0
	v_pk_add_f32 v[74:75], v[110:111], v[130:131]
	v_pk_add_f32 v[142:143], v[62:63], v[104:105]
	v_mov_b32_e32 v36, v69
	v_fmac_f32_e32 v59, 0xbf737871, v124
	ds_write2_b64 v79, v[142:143], v[74:75] offset1:1
	v_pk_fma_f32 v[74:75], v[128:129], v[150:151], v[36:37]
	v_sub_f32_e32 v36, v59, v137
	v_add_f32_e32 v147, v136, v36
	v_mov_b32_e32 v125, v104
	v_mov_b32_e32 v68, v63
	;; [unrolled: 1-line block ×5, first 2 shown]
	v_pk_add_f32 v[68:69], v[68:69], v[104:105] neg_lo:[0,1] neg_hi:[0,1]
	v_mul_f32_e32 v104, 0xbf167918, v147
	v_add_f32_e32 v124, v65, v9
	v_mov_b32_e32 v105, v62
	v_fmac_f32_e32 v104, 0xbf4f1bbd, v74
	v_pk_add_f32 v[62:63], v[124:125], v[104:105]
	v_pk_add_f32 v[134:135], v[124:125], v[104:105] neg_lo:[0,1] neg_hi:[0,1]
	v_add_f32_e32 v36, v4, v3
	v_mov_b32_e32 v63, v135
	ds_write2_b64 v79, v[62:63], v[68:69] offset0:2 offset1:3
	v_pk_add_f32 v[68:69], v[42:43], v[56:57]
	v_add_f32_e32 v9, v3, v52
	v_fma_f32 v39, -0.5, v68, v52
	v_fmac_f32_e32 v52, -0.5, v36
	v_pk_mul_f32 v[62:63], v[98:99], s[4:5]
	v_mov_b32_e32 v97, v104
	v_add_f32_e32 v36, v63, v52
	v_sub_f32_e32 v40, v52, v63
	v_sub_f32_e32 v134, v36, v62
	v_add_f32_e32 v135, v62, v40
	v_add_f32_e32 v52, v14, v11
	v_mov_b32_e32 v63, v96
	v_mov_b32_e32 v62, v57
	v_pk_add_f32 v[62:63], v[62:63], v[52:53]
	v_mov_b32_e32 v52, v111
	v_mov_b32_e32 v53, v124
	;; [unrolled: 1-line block ×3, first 2 shown]
	v_pk_add_f32 v[52:53], v[52:53], v[96:97] neg_lo:[0,1] neg_hi:[0,1]
	ds_write_b64 v79, v[52:53] offset:32
	v_mov_b32_e32 v52, v42
	v_mov_b32_e32 v53, v56
	v_pk_add_f32 v[124:125], v[4:5], v[42:43] neg_lo:[0,1] neg_hi:[0,1]
	v_mov_b32_e32 v5, v3
	v_pk_add_f32 v[52:53], v[52:53], v[4:5] neg_lo:[0,1] neg_hi:[0,1]
	v_mov_b32_e32 v104, v112
	v_add_f32_e32 v5, v52, v53
	v_pk_mul_f32 v[96:97], v[112:113], s[10:11]
	v_mov_b32_e32 v112, v89
	v_mul_f32_e32 v36, 0x3e9e377a, v5
	v_mov_b32_e32 v105, v88
	v_pk_mul_f32 v[110:111], v[112:113], s[0:1] op_sel_hi:[1,0]
	v_pk_add_f32 v[52:53], v[36:37], v[134:135] op_sel_hi:[0,1]
	v_pk_fma_f32 v[112:113], v[104:105], s[12:13], v[110:111] neg_lo:[0,0,1] neg_hi:[0,0,1]
	v_fma_f32 v36, -0.5, v133, v51
	v_mov_b32_e32 v110, v51
	v_mov_b32_e32 v104, v51
	;; [unrolled: 1-line block ×3, first 2 shown]
	v_add_f32_e32 v9, v56, v9
	v_pk_add_f32 v[56:57], v[2:3], v[50:51]
	v_pk_add_f32 v[50:51], v[2:3], v[50:51] neg_lo:[0,1] neg_hi:[0,1]
	v_mov_b32_e32 v2, v49
	v_mov_b32_e32 v57, v51
	;; [unrolled: 1-line block ×3, first 2 shown]
	v_pk_add_f32 v[48:49], v[48:49], v[56:57]
	v_mov_b32_e32 v56, v47
	v_mov_b32_e32 v47, v128
	v_pk_add_f32 v[50:51], v[46:47], v[48:49]
	v_pk_mul_f32 v[46:47], v[46:47], v[48:49]
	v_pk_mul_f32 v[48:49], v[98:99], s[0:1]
	v_mov_b32_e32 v68, v45
	v_sub_f32_e32 v5, v39, v48
	v_sub_f32_e32 v5, v5, v49
	v_mov_b32_e32 v45, v5
	v_fmamk_f32 v5, v106, 0x3f737871, v36
	v_add_f32_e32 v5, v127, v5
	v_mov_b32_e32 v51, v47
	v_add_f32_e32 v148, v126, v5
	v_pk_add_f32 v[44:45], v[44:45], v[50:51]
	v_mul_f32_e32 v5, 0x3f167918, v148
	v_add_f32_e32 v50, v42, v9
	v_mul_f32_e32 v51, 0x3f4f1bbd, v63
	v_fmac_f32_e32 v36, 0xbf737871, v106
	v_pk_add_f32 v[98:99], v[50:51], v[4:5]
	v_pk_add_f32 v[50:51], v[50:51], v[4:5] neg_lo:[0,1] neg_hi:[0,1]
	v_sub_f32_e32 v9, v36, v127
	v_mov_b32_e32 v99, v51
	v_add_f32_e32 v5, v48, v39
	v_add_f32_e32 v149, v126, v9
	v_pk_add_f32 v[128:129], v[44:45], v[98:99]
	v_add_f32_e32 v5, v49, v5
	v_mov_b32_e32 v48, v45
	v_mov_b32_e32 v45, v44
	v_mul_f32_e32 v44, 0xbf167918, v149
	v_add_f32_e32 v46, v47, v5
	v_mov_b32_e32 v47, v98
	v_mov_b32_e32 v49, v52
	;; [unrolled: 1-line block ×4, first 2 shown]
	v_fmac_f32_e32 v44, 0xbf4f1bbd, v78
	v_pk_add_f32 v[48:49], v[48:49], v[50:51] neg_lo:[0,1] neg_hi:[0,1]
	v_pk_add_f32 v[50:51], v[46:47], v[44:45]
	v_pk_add_f32 v[98:99], v[46:47], v[44:45] neg_lo:[0,1] neg_hi:[0,1]
	v_mov_b32_e32 v106, v43
	v_mov_b32_e32 v107, 0x3f167918
	v_add_f32_e32 v5, v60, v58
	v_mad_i32_i24 v75, v28, 40, 0
	v_pk_add_f32 v[124:125], v[52:53], v[112:113]
	v_mov_b32_e32 v51, v99
	v_mul_f32_e32 v81, 0.5, v81
	v_pk_add_f32 v[98:99], v[106:107], v[62:63]
	v_mov_b32_e32 v106, v41
	v_mov_b32_e32 v40, v55
	;; [unrolled: 1-line block ×4, first 2 shown]
	v_mul_f32_e32 v38, 0.5, v5
	ds_write2_b64 v75, v[128:129], v[124:125] offset1:1
	v_pk_add_f32 v[124:125], v[106:107], v[90:91]
	v_mov_b32_e32 v106, v37
	v_pk_add_f32 v[36:37], v[54:55], v[72:73]
	v_pk_add_f32 v[126:127], v[54:55], v[80:81] neg_lo:[0,1] neg_hi:[0,1]
	v_pk_add_f32 v[128:129], v[40:41], v[38:39] neg_lo:[0,1] neg_hi:[0,1]
	v_mul_f32_e32 v40, 0x3f737871, v87
	v_pk_mul_f32 v[38:39], v[128:129], s[0:1]
	v_mov_b32_e32 v41, v107
	v_mov_b32_e32 v37, v127
	v_mul_f32_e32 v35, 0x3f737871, v129
	v_mov_b32_e32 v38, v39
	v_fmamk_f32 v39, v87, 0xbf737871, v128
	v_pk_add_f32 v[42:43], v[128:129], v[40:41]
	v_pk_add_f32 v[34:35], v[34:35], v[36:37]
	v_mov_b32_e32 v87, v117
	v_pk_fma_f32 v[40:41], v[128:129], v[40:41], v[38:39]
	v_pk_add_f32 v[38:39], v[42:43], v[38:39] neg_lo:[0,1] neg_hi:[0,1]
	v_pk_add_f32 v[34:35], v[86:87], v[34:35]
	v_mov_b32_e32 v95, v116
	v_mov_b32_e32 v39, v41
	v_pk_add_f32 v[40:41], v[82:83], v[60:61] neg_lo:[0,1] neg_hi:[0,1]
	v_pk_add_f32 v[136:137], v[94:95], v[34:35]
	v_pk_add_f32 v[34:35], v[106:107], v[122:123]
	v_pk_mul_f32 v[36:37], v[122:123], s[0:1]
	v_add_f32_e32 v5, v40, v41
	v_mov_b32_e32 v35, v37
	v_mul_f32_e32 v61, 0x3f4f1bbd, v19
	v_fmac_f32_e32 v127, 0xbf737871, v129
	v_mul_f32_e32 v40, 0x3e9e377a, v5
	v_pk_fma_f32 v[132:133], v[118:119], s[10:11], v[120:121] op_sel:[0,0,1] op_sel_hi:[1,1,0]
	v_pk_fma_f32 v[134:135], v[118:119], s[10:11], v[120:121] op_sel:[0,0,1] op_sel_hi:[1,1,0] neg_lo:[0,0,1] neg_hi:[0,0,1]
	v_pk_add_f32 v[140:141], v[60:61], v[34:35]
	v_mov_b32_e32 v34, v53
	v_mov_b32_e32 v35, v46
	v_mov_b32_e32 v36, v113
	v_mov_b32_e32 v37, v44
	v_mul_f32_e32 v126, 0xbf4f1bbd, v115
	v_sub_f32_e32 v5, v127, v117
	v_pk_add_f32 v[130:131], v[40:41], v[38:39] op_sel_hi:[0,1]
	v_pk_add_f32 v[34:35], v[34:35], v[36:37] neg_lo:[0,1] neg_hi:[0,1]
	v_mov_b32_e32 v135, v133
	v_fmac_f32_e32 v126, 0x3f167918, v114
	v_add_f32_e32 v114, v116, v5
	ds_write_b64 v75, v[34:35] offset:32
	v_pk_add_f32 v[34:35], v[130:131], v[134:135]
	s_movk_i32 s4, 0xffdc
	v_mov_b32_e32 v115, v140
	v_mov_b32_e32 v132, v141
	;; [unrolled: 1-line block ×7, first 2 shown]
	v_mad_i32_i24 v80, v138, s4, v15
	v_lshl_add_u32 v82, v24, 2, 0
	v_pk_add_f32 v[116:117], v[116:117], v[132:133] neg_lo:[0,1] neg_hi:[0,1]
	v_pk_add_f32 v[128:129], v[114:115], v[126:127]
	v_pk_add_f32 v[132:133], v[114:115], v[126:127] neg_lo:[0,1] neg_hi:[0,1]
	v_pk_add_f32 v[114:115], v[130:131], v[134:135] neg_lo:[0,1] neg_hi:[0,1]
	v_mul_f32_e32 v85, 0.5, v85
	v_add_f32_e32 v5, v32, v18
	ds_write2_b64 v75, v[50:51], v[48:49] offset0:2 offset1:3
	v_mov_b32_e32 v142, v35
	v_mov_b32_e32 v143, v34
	s_load_dwordx2 s[2:3], s[2:3], 0x0
	s_waitcnt lgkmcnt(0)
	s_barrier
	v_lshl_add_u32 v81, v26, 2, 0
	v_mad_i32_i24 v59, v29, s4, v79
	v_mad_i32_i24 v58, v28, s4, v75
	v_lshl_add_u32 v61, v25, 2, 0
	v_lshl_add_u32 v83, v139, 2, 0
	ds_read_b32 v95, v80
	v_add_u32_e32 v113, 0x1600, v80
	v_add_u32_e32 v112, 0x2200, v80
	;; [unrolled: 1-line block ×11, first 2 shown]
	ds_read_b32 v72, v82
	ds_read_b32 v87, v58
	;; [unrolled: 1-line block ×6, first 2 shown]
	ds_read_b32 v111, v80 offset:15660
	ds_read2_b32 v[38:39], v113 offset0:77 offset1:212
	ds_read2_b32 v[36:37], v112 offset0:119 offset1:254
	;; [unrolled: 1-line block ×11, first 2 shown]
	s_waitcnt lgkmcnt(0)
	s_barrier
	ds_write_b64 v15, v[114:115] offset:32
	v_pk_add_f32 v[114:115], v[16:17], v[76:77]
	v_pk_add_f32 v[84:85], v[16:17], v[84:85] neg_lo:[0,1] neg_hi:[0,1]
	v_mov_b32_e32 v16, v17
	v_mov_b32_e32 v17, v7
	;; [unrolled: 1-line block ×3, first 2 shown]
	v_mul_f32_e32 v8, 0.5, v5
	v_pk_add_f32 v[8:9], v[16:17], v[8:9] neg_lo:[0,1] neg_hi:[0,1]
	v_mul_f32_e32 v18, 0x3f737871, v77
	v_pk_mul_f32 v[16:17], v[8:9], s[0:1]
	v_mov_b32_e32 v19, v107
	v_mov_b32_e32 v16, v17
	v_fmamk_f32 v17, v77, 0xbf737871, v8
	v_pk_add_f32 v[76:77], v[8:9], v[18:19]
	v_pk_fma_f32 v[18:19], v[8:9], v[18:19], v[16:17]
	v_pk_add_f32 v[16:17], v[76:77], v[16:17] neg_lo:[0,1] neg_hi:[0,1]
	v_mov_b32_e32 v115, v85
	v_mul_f32_e32 v7, 0x3f737871, v9
	v_mov_b32_e32 v17, v19
	v_pk_add_f32 v[18:19], v[70:71], v[32:33] neg_lo:[0,1] neg_hi:[0,1]
	v_pk_add_f32 v[6:7], v[6:7], v[114:115]
	v_mov_b32_e32 v67, v109
	v_add_f32_e32 v5, v18, v19
	v_pk_add_f32 v[6:7], v[66:67], v[6:7]
	v_mov_b32_e32 v65, v108
	v_mul_f32_e32 v8, 0x3e9e377a, v5
	v_pk_fma_f32 v[18:19], v[100:101], s[10:11], v[92:93] op_sel:[0,0,1] op_sel_hi:[1,1,0]
	v_pk_fma_f32 v[70:71], v[100:101], s[10:11], v[92:93] op_sel:[0,0,1] op_sel_hi:[1,1,0] neg_lo:[0,0,1] neg_hi:[0,0,1]
	v_pk_add_f32 v[6:7], v[64:65], v[6:7]
	v_pk_mul_f32 v[64:65], v[90:91], s[0:1]
	v_pk_add_f32 v[16:17], v[8:9], v[16:17] op_sel_hi:[0,1]
	v_mov_b32_e32 v125, v65
	v_mul_f32_e32 v33, 0x3f4f1bbd, v146
	v_mov_b32_e32 v71, v19
	v_pk_add_f32 v[32:33], v[32:33], v[124:125]
	v_pk_add_f32 v[64:65], v[16:17], v[70:71]
	v_fmac_f32_e32 v85, 0xbf737871, v9
	v_pk_add_f32 v[144:145], v[136:137], v[140:141]
	v_mov_b32_e32 v129, v133
	v_mov_b32_e32 v66, v65
	v_mov_b32_e32 v67, v64
	v_pk_add_f32 v[64:65], v[6:7], v[32:33]
	v_mul_f32_e32 v8, 0xbf4f1bbd, v147
	v_sub_f32_e32 v5, v85, v109
	ds_write2_b64 v15, v[144:145], v[142:143] offset1:1
	ds_write2_b64 v15, v[128:129], v[116:117] offset0:2 offset1:3
	ds_write2_b64 v79, v[64:65], v[66:67] offset1:1
	v_fmac_f32_e32 v8, 0x3f167918, v74
	v_add_f32_e32 v64, v108, v5
	v_mov_b32_e32 v65, v32
	v_mov_b32_e32 v18, v33
	;; [unrolled: 1-line block ×5, first 2 shown]
	v_pk_add_f32 v[6:7], v[6:7], v[18:19] neg_lo:[0,1] neg_hi:[0,1]
	v_pk_add_f32 v[18:19], v[64:65], v[8:9]
	v_pk_add_f32 v[32:33], v[64:65], v[8:9] neg_lo:[0,1] neg_hi:[0,1]
	v_mul_f32_e32 v105, 0.5, v69
	v_mov_b32_e32 v19, v33
	ds_write2_b64 v79, v[18:19], v[6:7] offset0:2 offset1:3
	v_pk_add_f32 v[6:7], v[10:11], v[110:111]
	v_pk_add_f32 v[18:19], v[10:11], v[104:105] neg_lo:[0,1] neg_hi:[0,1]
	v_mov_b32_e32 v10, v11
	v_mov_b32_e32 v11, v3
	v_add_f32_e32 v3, v12, v14
	v_mov_b32_e32 v5, v4
	v_mul_f32_e32 v4, 0.5, v3
	v_pk_add_f32 v[4:5], v[10:11], v[4:5] neg_lo:[0,1] neg_hi:[0,1]
	v_mov_b32_e32 v11, v107
	v_mul_f32_e32 v10, 0x3f737871, v73
	v_pk_mul_f32 v[32:33], v[4:5], s[0:1]
	v_fmamk_f32 v15, v73, 0xbf737871, v4
	v_mov_b32_e32 v14, v33
	v_pk_add_f32 v[32:33], v[4:5], v[10:11]
	v_pk_add_f32 v[0:1], v[0:1], v[12:13] neg_lo:[0,1] neg_hi:[0,1]
	v_pk_fma_f32 v[10:11], v[4:5], v[10:11], v[14:15]
	v_pk_add_f32 v[14:15], v[32:33], v[14:15] neg_lo:[0,1] neg_hi:[0,1]
	v_add_f32_e32 v0, v0, v1
	v_mov_b32_e32 v15, v11
	v_mul_f32_e32 v0, 0x3e9e377a, v0
	v_mov_b32_e32 v7, v19
	v_mul_f32_e32 v3, 0x3f737871, v5
	v_pk_add_f32 v[0:1], v[0:1], v[14:15] op_sel_hi:[0,1]
	v_pk_fma_f32 v[10:11], v[88:89], s[10:11], v[96:97] op_sel:[0,0,1] op_sel_hi:[1,1,0]
	v_pk_fma_f32 v[14:15], v[88:89], s[10:11], v[96:97] op_sel:[0,0,1] op_sel_hi:[1,1,0] neg_lo:[0,0,1] neg_hi:[0,0,1]
	v_pk_add_f32 v[2:3], v[2:3], v[6:7]
	v_mov_b32_e32 v57, v103
	v_pk_mul_f32 v[6:7], v[62:63], s[0:1]
	v_mov_b32_e32 v17, v64
	v_mov_b32_e32 v71, v8
	v_pk_add_f32 v[2:3], v[56:57], v[2:3]
	v_mov_b32_e32 v69, v102
	v_mov_b32_e32 v99, v7
	v_mul_f32_e32 v13, 0x3f4f1bbd, v148
	v_pk_add_f32 v[8:9], v[16:17], v[70:71] neg_lo:[0,1] neg_hi:[0,1]
	v_mov_b32_e32 v15, v11
	v_pk_add_f32 v[2:3], v[68:69], v[2:3]
	v_pk_add_f32 v[6:7], v[12:13], v[98:99]
	ds_write_b64 v79, v[8:9] offset:32
	v_pk_add_f32 v[8:9], v[0:1], v[14:15]
	v_fmac_f32_e32 v19, 0xbf737871, v5
	v_mov_b32_e32 v12, v9
	v_mov_b32_e32 v13, v8
	v_pk_add_f32 v[8:9], v[2:3], v[6:7]
	v_mul_f32_e32 v4, 0xbf4f1bbd, v149
	v_sub_f32_e32 v5, v19, v103
	ds_write2_b64 v75, v[8:9], v[12:13] offset1:1
	v_fmac_f32_e32 v4, 0x3f167918, v78
	v_add_f32_e32 v8, v102, v5
	v_mov_b32_e32 v5, v2
	v_mov_b32_e32 v2, v3
	v_mov_b32_e32 v3, v1
	v_mov_b32_e32 v1, v8
	v_mov_b32_e32 v15, v4
	v_pk_add_f32 v[0:1], v[0:1], v[14:15] neg_lo:[0,1] neg_hi:[0,1]
	s_mov_b32 s0, 0xcccd
	ds_write_b64 v75, v[0:1] offset:32
	v_mul_u32_u24_sdwa v0, v29, s0 dst_sel:DWORD dst_unused:UNUSED_PAD src0_sel:WORD_0 src1_sel:DWORD
	v_lshrrev_b32_e32 v65, 19, v0
	v_mov_b32_e32 v9, v6
	v_mul_lo_u16_e32 v0, 10, v65
	v_pk_add_f32 v[12:13], v[8:9], v[4:5]
	v_mov_b32_e32 v10, v7
	v_pk_add_f32 v[6:7], v[8:9], v[4:5] neg_lo:[0,1] neg_hi:[0,1]
	v_sub_u16_e32 v70, v29, v0
	v_pk_add_f32 v[2:3], v[2:3], v[10:11] neg_lo:[0,1] neg_hi:[0,1]
	v_mov_b32_e32 v13, v7
	v_lshlrev_b32_e32 v0, 5, v70
	ds_write2_b64 v75, v[12:13], v[2:3] offset0:2 offset1:3
	s_waitcnt lgkmcnt(0)
	s_barrier
	global_load_dwordx4 v[6:9], v0, s[8:9]
	v_mul_u32_u24_sdwa v1, v28, s0 dst_sel:DWORD dst_unused:UNUSED_PAD src0_sel:WORD_0 src1_sel:DWORD
	v_lshrrev_b32_e32 v77, 19, v1
	v_mul_lo_u16_e32 v1, 10, v77
	v_sub_u16_e32 v56, v28, v1
	v_lshlrev_b32_e32 v1, 5, v56
	global_load_dwordx4 v[12:15], v1, s[8:9]
	global_load_dwordx4 v[88:91], v0, s[8:9] offset:16
	global_load_dwordx4 v[96:99], v1, s[8:9] offset:16
	v_mul_u32_u24_sdwa v0, v25, s0 dst_sel:DWORD dst_unused:UNUSED_PAD src0_sel:WORD_0 src1_sel:DWORD
	v_lshrrev_b32_e32 v71, 19, v0
	v_mul_lo_u16_e32 v0, 10, v71
	v_sub_u16_e32 v76, v25, v0
	v_lshlrev_b32_e32 v0, 5, v76
	v_mul_u32_u24_sdwa v1, v24, s0 dst_sel:DWORD dst_unused:UNUSED_PAD src0_sel:WORD_0 src1_sel:DWORD
	global_load_dwordx4 v[124:127], v0, s[8:9]
	v_lshrrev_b32_e32 v78, 19, v1
	v_mul_lo_u16_e32 v1, 10, v78
	v_sub_u16_e32 v57, v24, v1
	v_lshlrev_b32_e32 v1, 5, v57
	global_load_dwordx4 v[128:131], v1, s[8:9]
	global_load_dwordx4 v[132:135], v0, s[8:9] offset:16
	ds_read2_b32 v[16:17], v123 offset0:49 offset1:184
	global_load_dwordx4 v[0:3], v1, s[8:9] offset:16
	ds_read2_b32 v[18:19], v150 offset0:91 offset1:226
	s_movk_i32 s1, 0xcd
	ds_read2_b32 v[32:33], v151 offset0:5 offset1:140
	ds_read2_b32 v[68:69], v152 offset0:47 offset1:182
	s_mov_b32 s4, 0x5040100
	s_waitcnt vmcnt(7) lgkmcnt(3)
	v_mul_f32_e32 v62, v16, v7
	v_mul_f32_e32 v4, v54, v7
	v_fmac_f32_e32 v62, v54, v6
	v_fma_f32 v54, v16, v6, -v4
	v_mul_lo_u16_sdwa v4, v138, s1 dst_sel:DWORD dst_unused:UNUSED_PAD src0_sel:BYTE_0 src1_sel:DWORD
	v_lshrrev_b16_e32 v110, 11, v4
	v_mul_lo_u16_e32 v4, 10, v110
	v_sub_u16_e32 v114, v138, v4
	v_mov_b32_e32 v4, 5
	s_waitcnt lgkmcnt(2)
	v_mul_f32_e32 v63, v18, v9
	v_mul_f32_e32 v9, v52, v9
	v_lshlrev_b32_sdwa v16, v4, v114 dst_sel:DWORD dst_unused:UNUSED_PAD src0_sel:DWORD src1_sel:BYTE_0
	global_load_dwordx4 v[4:7], v16, s[8:9]
	v_fmac_f32_e32 v63, v52, v8
	v_fma_f32 v67, v18, v8, -v9
	v_mul_u32_u24_sdwa v8, v139, s0 dst_sel:DWORD dst_unused:UNUSED_PAD src0_sel:WORD_0 src1_sel:DWORD
	v_lshrrev_b32_e32 v84, 19, v8
	v_mul_lo_u16_e32 v8, 10, v84
	v_sub_u16_e32 v85, v139, v8
	v_lshlrev_b32_e32 v18, 5, v85
	global_load_dwordx4 v[8:11], v18, s[8:9]
	s_waitcnt vmcnt(8)
	v_mul_f32_e32 v52, v17, v13
	v_mul_f32_e32 v13, v55, v13
	v_fmac_f32_e32 v52, v55, v12
	v_fma_f32 v64, v17, v12, -v13
	v_mul_f32_e32 v74, v19, v15
	v_mul_f32_e32 v12, v53, v15
	v_fmac_f32_e32 v74, v53, v14
	v_fma_f32 v66, v19, v14, -v12
	global_load_dwordx4 v[12:15], v16, s[8:9] offset:16
	s_waitcnt vmcnt(8)
	v_mul_f32_e32 v16, v50, v89
	s_waitcnt lgkmcnt(1)
	v_fma_f32 v101, v32, v88, -v16
	global_load_dwordx4 v[16:19], v18, s[8:9] offset:16
	v_mul_f32_e32 v105, v32, v89
	v_mul_f32_e32 v32, v48, v91
	s_waitcnt lgkmcnt(0)
	v_fma_f32 v107, v68, v90, -v32
	s_waitcnt vmcnt(8)
	v_mul_f32_e32 v32, v51, v97
	v_mul_f32_e32 v102, v33, v97
	v_fma_f32 v97, v33, v96, -v32
	ds_read2_b32 v[32:33], v122 offset0:63 offset1:198
	v_mul_f32_e32 v108, v68, v91
	v_fmac_f32_e32 v108, v48, v90
	v_mul_f32_e32 v104, v69, v99
	v_mul_f32_e32 v48, v49, v99
	v_fmac_f32_e32 v104, v49, v98
	v_fma_f32 v99, v69, v98, -v48
	ds_read2_b32 v[48:49], v121 offset0:105 offset1:240
	s_waitcnt vmcnt(7) lgkmcnt(1)
	v_mul_f32_e32 v92, v32, v125
	v_fmac_f32_e32 v92, v46, v124
	v_mul_f32_e32 v46, v46, v125
	v_fmac_f32_e32 v105, v50, v88
	v_fma_f32 v88, v32, v124, -v46
	v_mul_f32_e32 v32, v44, v127
	s_waitcnt lgkmcnt(0)
	v_fma_f32 v89, v48, v126, -v32
	s_waitcnt vmcnt(6)
	v_mul_f32_e32 v32, v47, v129
	v_fmac_f32_e32 v102, v51, v96
	v_fma_f32 v51, v33, v128, -v32
	v_mul_f32_e32 v32, v45, v131
	v_mul_f32_e32 v68, v33, v129
	v_fma_f32 v53, v49, v130, -v32
	ds_read2_b32 v[32:33], v119 offset0:61 offset1:196
	v_fmac_f32_e32 v68, v47, v128
	ds_read2_b32 v[46:47], v120 offset0:19 offset1:154
	v_mov_b32_e32 v50, 2
	s_movk_i32 s0, 0xc8
	s_waitcnt vmcnt(5) lgkmcnt(1)
	v_mul_f32_e32 v103, v32, v135
	v_fmac_f32_e32 v103, v40, v134
	v_mul_f32_e32 v40, v40, v135
	s_waitcnt vmcnt(4) lgkmcnt(0)
	v_mul_f32_e32 v90, v47, v1
	v_mul_f32_e32 v1, v43, v1
	v_fma_f32 v98, v32, v134, -v40
	v_fmac_f32_e32 v90, v43, v0
	v_fma_f32 v69, v47, v0, -v1
	ds_read_b32 v1, v82
	ds_read_b32 v0, v83
	;; [unrolled: 1-line block ×6, first 2 shown]
	v_mul_f32_e32 v91, v33, v3
	v_mul_f32_e32 v3, v41, v3
	v_fmac_f32_e32 v91, v41, v2
	v_fma_f32 v117, v33, v2, -v3
	ds_read2_b32 v[2:3], v113 offset0:77 offset1:212
	ds_read_b32 v33, v80 offset:15660
	v_mul_f32_e32 v93, v48, v127
	v_mul_f32_e32 v100, v46, v133
	v_fmac_f32_e32 v93, v44, v126
	v_fmac_f32_e32 v100, v42, v132
	v_mul_f32_e32 v42, v42, v133
	v_fma_f32 v96, v46, v132, -v42
	v_mul_f32_e32 v73, v49, v131
	v_fmac_f32_e32 v73, v45, v130
	v_add_u32_e32 v55, 0x1c00, v80
	v_add_u32_e32 v48, 0x2500, v80
	;; [unrolled: 1-line block ×3, first 2 shown]
	s_waitcnt vmcnt(3) lgkmcnt(2)
	v_mul_f32_e32 v40, v32, v5
	v_mul_f32_e32 v5, v118, v5
	v_fmac_f32_e32 v40, v118, v4
	v_fma_f32 v113, v32, v4, -v5
	s_waitcnt lgkmcnt(1)
	v_mul_f32_e32 v32, v3, v7
	v_mul_f32_e32 v4, v39, v7
	v_fmac_f32_e32 v32, v39, v6
	v_fma_f32 v6, v3, v6, -v4
	ds_read2_b32 v[4:5], v112 offset0:119 offset1:254
	s_waitcnt vmcnt(2)
	v_mul_f32_e32 v7, v2, v9
	v_mul_f32_e32 v3, v38, v9
	v_fmac_f32_e32 v7, v38, v8
	v_fma_f32 v8, v2, v8, -v3
	v_mul_f32_e32 v2, v36, v11
	s_waitcnt lgkmcnt(0)
	v_mul_f32_e32 v9, v4, v11
	v_fma_f32 v4, v4, v10, -v2
	ds_read2_b32 v[2:3], v106 offset0:33 offset1:168
	v_fmac_f32_e32 v9, v36, v10
	s_waitcnt vmcnt(1)
	v_mul_f32_e32 v10, v5, v13
	v_mul_f32_e32 v11, v37, v13
	v_fmac_f32_e32 v10, v37, v12
	v_fma_f32 v5, v5, v12, -v11
	s_waitcnt lgkmcnt(0)
	v_mul_f32_e32 v11, v3, v15
	v_mul_f32_e32 v12, v35, v15
	v_fmac_f32_e32 v11, v35, v14
	v_fma_f32 v3, v3, v14, -v12
	s_waitcnt vmcnt(0)
	v_mul_f32_e32 v12, v2, v17
	v_mul_f32_e32 v13, v34, v17
	v_fmac_f32_e32 v12, v34, v16
	v_fma_f32 v2, v2, v16, -v13
	v_mul_f32_e32 v14, v33, v19
	v_mul_f32_e32 v15, v111, v19
	v_sub_f32_e32 v16, v40, v32
	v_sub_f32_e32 v17, v11, v10
	v_fmac_f32_e32 v14, v111, v18
	v_fma_f32 v15, v33, v18, -v15
	v_add_f32_e32 v16, v16, v17
	v_lshlrev_b32_sdwa v17, v50, v114 dst_sel:DWORD dst_unused:UNUSED_PAD src0_sel:DWORD src1_sel:BYTE_0
	v_mul_u32_u24_e32 v18, 0xc8, v110
	v_add3_u32 v114, 0, v18, v17
	v_add_f32_e32 v18, v32, v10
	v_add_f32_e32 v17, v95, v40
	v_fma_f32 v18, -0.5, v18, v95
	v_sub_f32_e32 v19, v113, v3
	v_add_f32_e32 v17, v17, v32
	v_fmamk_f32 v33, v19, 0xbf737871, v18
	v_sub_f32_e32 v34, v6, v5
	v_add_f32_e32 v17, v17, v10
	v_fmac_f32_e32 v33, 0xbf167918, v34
	v_add_f32_e32 v17, v17, v11
	v_fmac_f32_e32 v33, 0x3e9e377a, v16
	ds_read_b32 v13, v80
	s_waitcnt lgkmcnt(0)
	s_barrier
	ds_write2_b32 v114, v17, v33 offset1:10
	v_add_f32_e32 v17, v40, v11
	v_fmac_f32_e32 v95, -0.5, v17
	v_sub_f32_e32 v17, v32, v40
	v_sub_f32_e32 v33, v10, v11
	v_add_f32_e32 v17, v17, v33
	v_fmamk_f32 v33, v34, 0x3f737871, v95
	v_fmac_f32_e32 v95, 0xbf737871, v34
	v_fmac_f32_e32 v18, 0x3f737871, v19
	;; [unrolled: 1-line block ×8, first 2 shown]
	v_sub_f32_e32 v16, v62, v63
	v_sub_f32_e32 v17, v108, v105
	v_add_f32_e32 v16, v16, v17
	v_perm_b32 v17, v65, v77, s4
	v_pk_mul_lo_u16 v17, v17, s0 op_sel_hi:[1,0]
	ds_write_b32 v114, v18 offset:160
	v_lshlrev_b32_e32 v18, 2, v70
	v_lshrrev_b32_e32 v19, 16, v17
	v_add3_u32 v118, 0, v19, v18
	v_add_f32_e32 v19, v63, v105
	ds_write2_b32 v114, v33, v95 offset0:20 offset1:30
	v_add_f32_e32 v18, v94, v62
	v_fma_f32 v19, -0.5, v19, v94
	v_sub_f32_e32 v33, v54, v107
	v_add_f32_e32 v18, v18, v63
	v_fmamk_f32 v34, v33, 0xbf737871, v19
	v_sub_f32_e32 v35, v67, v101
	v_add_f32_e32 v18, v18, v105
	v_fmac_f32_e32 v34, 0xbf167918, v35
	v_add_f32_e32 v18, v18, v108
	v_fmac_f32_e32 v34, 0x3e9e377a, v16
	ds_write2_b32 v118, v18, v34 offset1:10
	v_add_f32_e32 v18, v62, v108
	v_fmac_f32_e32 v94, -0.5, v18
	v_sub_f32_e32 v18, v63, v62
	v_sub_f32_e32 v34, v105, v108
	v_add_f32_e32 v18, v18, v34
	v_fmamk_f32 v34, v35, 0x3f737871, v94
	v_fmac_f32_e32 v94, 0xbf737871, v35
	v_fmac_f32_e32 v19, 0x3f737871, v33
	;; [unrolled: 1-line block ×8, first 2 shown]
	v_sub_f32_e32 v16, v52, v74
	v_sub_f32_e32 v18, v104, v102
	v_add_f32_e32 v16, v16, v18
	v_lshlrev_b32_e32 v18, 2, v56
	v_and_b32_e32 v17, 0xfff8, v17
	v_add3_u32 v119, 0, v17, v18
	v_add_f32_e32 v18, v74, v102
	ds_write_b32 v118, v19 offset:160
	v_add_f32_e32 v17, v87, v52
	v_fma_f32 v18, -0.5, v18, v87
	v_sub_f32_e32 v19, v64, v99
	ds_write2_b32 v118, v34, v94 offset0:20 offset1:30
	v_add_f32_e32 v17, v17, v74
	v_fmamk_f32 v33, v19, 0xbf737871, v18
	v_sub_f32_e32 v34, v66, v97
	v_add_f32_e32 v17, v17, v102
	v_fmac_f32_e32 v33, 0xbf167918, v34
	v_add_f32_e32 v17, v17, v104
	v_fmac_f32_e32 v33, 0x3e9e377a, v16
	ds_write2_b32 v119, v17, v33 offset1:10
	v_add_f32_e32 v17, v52, v104
	v_fmac_f32_e32 v87, -0.5, v17
	v_sub_f32_e32 v17, v74, v52
	v_sub_f32_e32 v33, v102, v104
	v_add_f32_e32 v17, v17, v33
	v_fmamk_f32 v33, v34, 0x3f737871, v87
	v_fmac_f32_e32 v87, 0xbf737871, v34
	v_fmac_f32_e32 v18, 0x3f737871, v19
	;; [unrolled: 1-line block ×8, first 2 shown]
	v_sub_f32_e32 v16, v92, v93
	v_sub_f32_e32 v17, v103, v100
	v_add_f32_e32 v16, v16, v17
	v_perm_b32 v17, v71, v78, s4
	v_pk_mul_lo_u16 v17, v17, s0 op_sel_hi:[1,0]
	ds_write_b32 v119, v18 offset:160
	v_lshlrev_b32_e32 v18, 2, v76
	v_lshrrev_b32_e32 v19, 16, v17
	v_add3_u32 v120, 0, v19, v18
	v_add_f32_e32 v19, v93, v100
	ds_write2_b32 v119, v33, v87 offset0:20 offset1:30
	v_add_f32_e32 v18, v86, v92
	v_fma_f32 v19, -0.5, v19, v86
	v_sub_f32_e32 v33, v88, v98
	v_add_f32_e32 v18, v18, v93
	v_fmamk_f32 v34, v33, 0xbf737871, v19
	v_sub_f32_e32 v35, v89, v96
	v_add_f32_e32 v18, v18, v100
	v_fmac_f32_e32 v34, 0xbf167918, v35
	v_add_f32_e32 v18, v18, v103
	v_fmac_f32_e32 v34, 0x3e9e377a, v16
	ds_write2_b32 v120, v18, v34 offset1:10
	v_add_f32_e32 v18, v92, v103
	v_fmac_f32_e32 v86, -0.5, v18
	v_sub_f32_e32 v18, v93, v92
	v_sub_f32_e32 v34, v100, v103
	v_add_f32_e32 v18, v18, v34
	v_fmamk_f32 v34, v35, 0x3f737871, v86
	v_fmac_f32_e32 v86, 0xbf737871, v35
	v_fmac_f32_e32 v19, 0x3f737871, v33
	;; [unrolled: 1-line block ×8, first 2 shown]
	v_sub_f32_e32 v16, v68, v73
	v_sub_f32_e32 v18, v91, v90
	v_add_f32_e32 v16, v16, v18
	v_lshlrev_b32_e32 v18, 2, v57
	v_and_b32_e32 v17, 0xfff8, v17
	v_add3_u32 v121, 0, v17, v18
	v_add_f32_e32 v18, v73, v90
	ds_write_b32 v120, v19 offset:160
	v_add_f32_e32 v17, v72, v68
	v_fma_f32 v18, -0.5, v18, v72
	v_sub_f32_e32 v19, v51, v117
	ds_write2_b32 v120, v34, v86 offset0:20 offset1:30
	v_add_f32_e32 v17, v17, v73
	v_fmamk_f32 v33, v19, 0xbf737871, v18
	v_sub_f32_e32 v34, v53, v69
	v_add_f32_e32 v17, v17, v90
	v_fmac_f32_e32 v33, 0xbf167918, v34
	v_add_f32_e32 v17, v17, v91
	v_fmac_f32_e32 v33, 0x3e9e377a, v16
	ds_write2_b32 v121, v17, v33 offset1:10
	v_add_f32_e32 v17, v68, v91
	v_fmac_f32_e32 v72, -0.5, v17
	v_sub_f32_e32 v17, v73, v68
	v_sub_f32_e32 v33, v90, v91
	v_add_f32_e32 v17, v17, v33
	v_fmamk_f32 v33, v34, 0x3f737871, v72
	v_fmac_f32_e32 v72, 0xbf737871, v34
	v_fmac_f32_e32 v18, 0x3f737871, v19
	;; [unrolled: 1-line block ×8, first 2 shown]
	v_sub_f32_e32 v16, v7, v9
	v_sub_f32_e32 v17, v14, v12
	v_add_f32_e32 v16, v16, v17
	ds_write_b32 v121, v18 offset:160
	v_lshlrev_b32_e32 v17, 2, v85
	v_mul_u32_u24_e32 v18, 0xc8, v84
	v_add3_u32 v122, 0, v18, v17
	v_add_f32_e32 v18, v9, v12
	v_add_f32_e32 v17, v60, v7
	v_fma_f32 v18, -0.5, v18, v60
	v_sub_f32_e32 v19, v8, v15
	ds_write2_b32 v121, v33, v72 offset0:20 offset1:30
	v_add_f32_e32 v17, v17, v9
	v_fmamk_f32 v33, v19, 0xbf737871, v18
	v_sub_f32_e32 v34, v4, v2
	v_fmac_f32_e32 v18, 0x3f737871, v19
	v_add_f32_e32 v17, v17, v12
	v_fmac_f32_e32 v33, 0xbf167918, v34
	v_fmac_f32_e32 v18, 0x3f167918, v34
	v_add_f32_e32 v17, v17, v14
	v_fmac_f32_e32 v33, 0x3e9e377a, v16
	v_fmac_f32_e32 v18, 0x3e9e377a, v16
	v_add_f32_e32 v16, v13, v113
	ds_write2_b32 v122, v17, v33 offset1:10
	v_add_f32_e32 v17, v7, v14
	v_add_f32_e32 v16, v16, v6
	v_fmac_f32_e32 v60, -0.5, v17
	v_sub_f32_e32 v17, v9, v7
	v_sub_f32_e32 v33, v12, v14
	v_add_f32_e32 v16, v16, v5
	v_add_f32_e32 v17, v17, v33
	v_fmamk_f32 v33, v34, 0x3f737871, v60
	v_fmac_f32_e32 v60, 0xbf737871, v34
	v_add_f32_e32 v124, v16, v3
	v_add_f32_e32 v16, v6, v5
	v_fmac_f32_e32 v33, 0xbf167918, v19
	v_fmac_f32_e32 v60, 0x3f167918, v19
	v_sub_f32_e32 v11, v40, v11
	v_fma_f32 v125, -0.5, v16, v13
	v_fmac_f32_e32 v33, 0x3e9e377a, v17
	v_fmac_f32_e32 v60, 0x3e9e377a, v17
	v_sub_f32_e32 v10, v32, v10
	v_sub_f32_e32 v17, v113, v6
	v_sub_f32_e32 v32, v3, v5
	v_fmamk_f32 v126, v11, 0x3f737871, v125
	v_add_f32_e32 v123, v17, v32
	v_fmac_f32_e32 v126, 0x3f167918, v10
	v_fmac_f32_e32 v126, 0x3e9e377a, v123
	v_add_u32_e32 v78, 0x1400, v80
	ds_write2_b32 v122, v33, v60 offset0:20 offset1:30
	ds_write_b32 v122, v18 offset:160
	s_waitcnt lgkmcnt(0)
	s_barrier
	ds_read_b32 v111, v80
	v_add_u32_e32 v84, 0x2a00, v80
	ds_read_b32 v110, v59
	ds_read_b32 v95, v58
	v_add_u32_e32 v65, 0x1800, v80
	v_add_u32_e32 v85, 0x2e00, v80
	;; [unrolled: 1-line block ×3, first 2 shown]
	v_lshl_add_u32 v71, v27, 2, 0
	v_lshl_add_u32 v76, v30, 2, 0
	;; [unrolled: 1-line block ×3, first 2 shown]
	ds_read_b32 v94, v83
	ds_read_b32 v86, v71
	;; [unrolled: 1-line block ×7, first 2 shown]
	v_add_u32_e32 v56, 0x2000, v80
	v_add_u32_e32 v57, 0x3600, v80
	ds_read2_b32 v[46:47], v78 offset0:70 offset1:205
	ds_read2_b32 v[44:45], v84 offset0:12 offset1:147
	;; [unrolled: 1-line block ×10, first 2 shown]
	s_waitcnt lgkmcnt(0)
	s_barrier
	ds_write2_b32 v114, v124, v126 offset1:10
	v_add_f32_e32 v124, v113, v3
	v_fmac_f32_e32 v13, -0.5, v124
	v_sub_f32_e32 v6, v6, v113
	v_sub_f32_e32 v3, v5, v3
	v_fmamk_f32 v5, v10, 0xbf737871, v13
	v_fmac_f32_e32 v13, 0x3f737871, v10
	v_fmac_f32_e32 v125, 0xbf737871, v11
	v_add_f32_e32 v3, v6, v3
	v_fmac_f32_e32 v5, 0x3f167918, v11
	v_fmac_f32_e32 v13, 0xbf167918, v11
	;; [unrolled: 1-line block ×3, first 2 shown]
	v_sub_f32_e32 v6, v54, v67
	v_sub_f32_e32 v10, v107, v101
	v_add_f32_e32 v11, v67, v101
	v_fmac_f32_e32 v5, 0x3e9e377a, v3
	v_fmac_f32_e32 v13, 0x3e9e377a, v3
	v_sub_f32_e32 v3, v62, v108
	v_add_f32_e32 v6, v6, v10
	v_add_f32_e32 v10, v115, v54
	v_fma_f32 v11, -0.5, v11, v115
	ds_write2_b32 v114, v5, v13 offset0:20 offset1:30
	v_sub_f32_e32 v5, v63, v105
	v_add_f32_e32 v10, v10, v67
	v_fmamk_f32 v13, v3, 0x3f737871, v11
	v_add_f32_e32 v10, v10, v101
	v_fmac_f32_e32 v13, 0x3f167918, v5
	v_fmac_f32_e32 v125, 0x3e9e377a, v123
	v_add_f32_e32 v10, v10, v107
	v_fmac_f32_e32 v13, 0x3e9e377a, v6
	ds_write_b32 v114, v125 offset:160
	ds_write2_b32 v118, v10, v13 offset1:10
	v_add_f32_e32 v10, v54, v107
	v_fmac_f32_e32 v115, -0.5, v10
	v_sub_f32_e32 v10, v67, v54
	v_sub_f32_e32 v13, v101, v107
	v_fmac_f32_e32 v11, 0xbf737871, v3
	v_add_f32_e32 v10, v10, v13
	v_fmamk_f32 v13, v5, 0xbf737871, v115
	v_fmac_f32_e32 v115, 0x3f737871, v5
	v_fmac_f32_e32 v11, 0xbf167918, v5
	;; [unrolled: 1-line block ×7, first 2 shown]
	ds_write_b32 v118, v11 offset:160
	v_sub_f32_e32 v6, v64, v66
	v_sub_f32_e32 v10, v99, v97
	v_add_f32_e32 v11, v66, v97
	v_sub_f32_e32 v3, v52, v104
	v_add_f32_e32 v6, v6, v10
	v_add_f32_e32 v10, v109, v64
	v_fma_f32 v11, -0.5, v11, v109
	ds_write2_b32 v118, v13, v115 offset0:20 offset1:30
	v_sub_f32_e32 v5, v74, v102
	v_add_f32_e32 v10, v10, v66
	v_fmamk_f32 v13, v3, 0x3f737871, v11
	v_add_f32_e32 v10, v10, v97
	v_fmac_f32_e32 v13, 0x3f167918, v5
	v_add_f32_e32 v10, v10, v99
	v_fmac_f32_e32 v13, 0x3e9e377a, v6
	ds_write2_b32 v119, v10, v13 offset1:10
	v_add_f32_e32 v10, v64, v99
	v_fmac_f32_e32 v109, -0.5, v10
	v_sub_f32_e32 v10, v66, v64
	v_sub_f32_e32 v13, v97, v99
	v_fmac_f32_e32 v11, 0xbf737871, v3
	v_add_f32_e32 v10, v10, v13
	v_fmamk_f32 v13, v5, 0xbf737871, v109
	v_fmac_f32_e32 v109, 0x3f737871, v5
	v_fmac_f32_e32 v11, 0xbf167918, v5
	;; [unrolled: 1-line block ×7, first 2 shown]
	ds_write_b32 v119, v11 offset:160
	v_sub_f32_e32 v6, v88, v89
	v_sub_f32_e32 v10, v98, v96
	v_add_f32_e32 v11, v89, v96
	v_sub_f32_e32 v3, v92, v103
	v_add_f32_e32 v6, v6, v10
	v_add_f32_e32 v10, v116, v88
	v_fma_f32 v11, -0.5, v11, v116
	ds_write2_b32 v119, v13, v109 offset0:20 offset1:30
	v_sub_f32_e32 v5, v93, v100
	v_add_f32_e32 v10, v10, v89
	v_fmamk_f32 v13, v3, 0x3f737871, v11
	v_add_f32_e32 v10, v10, v96
	v_fmac_f32_e32 v13, 0x3f167918, v5
	v_add_f32_e32 v10, v10, v98
	v_fmac_f32_e32 v13, 0x3e9e377a, v6
	ds_write2_b32 v120, v10, v13 offset1:10
	v_add_f32_e32 v10, v88, v98
	v_fmac_f32_e32 v116, -0.5, v10
	v_sub_f32_e32 v10, v89, v88
	v_sub_f32_e32 v13, v96, v98
	v_add_f32_e32 v10, v10, v13
	v_fmamk_f32 v13, v5, 0xbf737871, v116
	v_fmac_f32_e32 v116, 0x3f737871, v5
	v_fmac_f32_e32 v11, 0xbf737871, v3
	v_fmac_f32_e32 v13, 0x3f167918, v3
	v_fmac_f32_e32 v116, 0xbf167918, v3
	v_fmac_f32_e32 v11, 0xbf167918, v5
	v_fmac_f32_e32 v13, 0x3e9e377a, v10
	v_fmac_f32_e32 v116, 0x3e9e377a, v10
	v_fmac_f32_e32 v11, 0x3e9e377a, v6
	v_sub_f32_e32 v6, v51, v53
	v_sub_f32_e32 v10, v117, v69
	v_add_f32_e32 v6, v6, v10
	v_add_f32_e32 v10, v53, v69
	v_sub_f32_e32 v3, v68, v91
	v_fma_f32 v10, -0.5, v10, v1
	ds_write_b32 v120, v11 offset:160
	v_sub_f32_e32 v5, v73, v90
	v_fmamk_f32 v11, v3, 0x3f737871, v10
	v_fmac_f32_e32 v10, 0xbf737871, v3
	ds_write2_b32 v120, v13, v116 offset0:20 offset1:30
	v_fmac_f32_e32 v11, 0x3f167918, v5
	v_fmac_f32_e32 v10, 0xbf167918, v5
	v_add_f32_e32 v13, v51, v117
	v_fmac_f32_e32 v11, 0x3e9e377a, v6
	v_fmac_f32_e32 v10, 0x3e9e377a, v6
	v_add_f32_e32 v6, v1, v51
	v_fmac_f32_e32 v1, -0.5, v13
	v_sub_f32_e32 v13, v53, v51
	v_sub_f32_e32 v51, v69, v117
	v_add_f32_e32 v13, v13, v51
	v_fmamk_f32 v51, v5, 0xbf737871, v1
	v_fmac_f32_e32 v1, 0x3f737871, v5
	v_fmac_f32_e32 v51, 0x3f167918, v3
	;; [unrolled: 1-line block ×3, first 2 shown]
	v_sub_f32_e32 v3, v7, v14
	v_sub_f32_e32 v5, v9, v12
	;; [unrolled: 1-line block ×4, first 2 shown]
	v_add_f32_e32 v7, v7, v9
	v_add_f32_e32 v9, v4, v2
	v_fma_f32 v9, -0.5, v9, v0
	v_fmamk_f32 v12, v3, 0x3f737871, v9
	v_fmac_f32_e32 v9, 0xbf737871, v3
	v_fmac_f32_e32 v12, 0x3f167918, v5
	;; [unrolled: 1-line block ×5, first 2 shown]
	v_add_f32_e32 v7, v0, v8
	v_fmac_f32_e32 v51, 0x3e9e377a, v13
	v_fmac_f32_e32 v1, 0x3e9e377a, v13
	v_add_f32_e32 v13, v8, v15
	v_add_f32_e32 v7, v7, v4
	v_fmac_f32_e32 v0, -0.5, v13
	v_sub_f32_e32 v4, v4, v8
	v_add_f32_e32 v7, v7, v2
	v_sub_f32_e32 v2, v2, v15
	v_add_f32_e32 v6, v6, v53
	v_add_f32_e32 v2, v4, v2
	v_fmamk_f32 v4, v5, 0xbf737871, v0
	v_fmac_f32_e32 v0, 0x3f737871, v5
	v_add_f32_e32 v6, v6, v69
	v_fmac_f32_e32 v0, 0xbf167918, v3
	v_add_f32_e32 v6, v6, v117
	v_fmac_f32_e32 v4, 0x3f167918, v3
	v_fmac_f32_e32 v0, 0x3e9e377a, v2
	v_add_f32_e32 v7, v7, v15
	v_fmac_f32_e32 v4, 0x3e9e377a, v2
	ds_write2_b32 v121, v6, v11 offset1:10
	ds_write2_b32 v121, v51, v1 offset0:20 offset1:30
	ds_write_b32 v121, v10 offset:160
	ds_write2_b32 v122, v7, v12 offset1:10
	ds_write2_b32 v122, v4, v0 offset0:20 offset1:30
	ds_write_b32 v122, v9 offset:160
	v_mov_b32_e32 v0, 41
	v_mul_lo_u16_sdwa v0, v138, v0 dst_sel:DWORD dst_unused:UNUSED_PAD src0_sel:BYTE_0 src1_sel:DWORD
	v_lshrrev_b16_e32 v69, 11, v0
	v_lshrrev_b16_e32 v4, 1, v29
	v_mul_lo_u16_e32 v0, 50, v69
	v_mul_u32_u24_e32 v4, 0x147b, v4
	v_sub_u16_e32 v73, v138, v0
	v_mov_b32_e32 v0, 4
	v_lshrrev_b32_e32 v67, 17, v4
	v_lshrrev_b16_e32 v51, 1, v28
	v_lshrrev_b16_e32 v53, 1, v24
	v_lshlrev_b32_sdwa v0, v0, v73 dst_sel:DWORD dst_unused:UNUSED_PAD src0_sel:DWORD src1_sel:BYTE_0
	v_mul_lo_u16_e32 v4, 50, v67
	v_mul_u32_u24_e32 v8, 0x147b, v51
	v_mul_u32_u24_e32 v54, 0x147b, v53
	s_waitcnt lgkmcnt(0)
	s_barrier
	global_load_dwordx4 v[0:3], v0, s[8:9] offset:320
	v_sub_u16_e32 v68, v29, v4
	v_lshrrev_b32_e32 v74, 17, v8
	v_lshrrev_b32_e32 v91, 17, v54
	v_lshlrev_b32_e32 v4, 4, v68
	global_load_dwordx4 v[4:7], v4, s[8:9] offset:320
	v_mul_lo_u16_e32 v8, 50, v74
	v_mul_lo_u16_e32 v54, 50, v91
	v_sub_u16_e32 v88, v28, v8
	v_sub_u16_e32 v92, v24, v54
	v_lshlrev_b32_e32 v8, 4, v88
	v_lshlrev_b32_e32 v54, 4, v92
	global_load_dwordx4 v[12:15], v8, s[8:9] offset:320
	global_load_dwordx4 v[100:103], v54, s[8:9] offset:320
	v_lshrrev_b16_e32 v52, 1, v25
	v_lshrrev_b16_e32 v54, 1, v139
	v_mul_u32_u24_e32 v8, 0x147b, v52
	v_mul_u32_u24_e32 v62, 0x147b, v54
	v_lshrrev_b32_e32 v89, 17, v8
	v_lshrrev_b32_e32 v93, 17, v62
	v_mul_lo_u16_e32 v8, 50, v89
	v_mul_lo_u16_e32 v62, 50, v93
	v_sub_u16_e32 v90, v25, v8
	v_sub_u16_e32 v96, v139, v62
	v_lshlrev_b32_e32 v8, 4, v90
	v_lshlrev_b32_e32 v62, 4, v96
	v_lshrrev_b16_e32 v64, 1, v26
	global_load_dwordx4 v[8:11], v8, s[8:9] offset:320
	s_movk_i32 s0, 0x258
	global_load_dwordx4 v[114:117], v62, s[8:9] offset:320
	v_mul_u32_u24_e32 v62, 0x147b, v64
	v_lshrrev_b32_e32 v98, 17, v62
	v_mul_lo_u16_e32 v62, 50, v98
	v_sub_u16_e32 v97, v26, v62
	v_lshlrev_b32_e32 v62, 4, v97
	global_load_dwordx4 v[118:121], v62, s[8:9] offset:320
	v_lshrrev_b16_e32 v62, 1, v27
	v_mul_u32_u24_e32 v63, 0x147b, v62
	v_lshrrev_b32_e32 v99, 17, v63
	v_mul_lo_u16_e32 v63, 50, v99
	v_sub_u16_e32 v107, v27, v63
	v_lshlrev_b32_e32 v63, 4, v107
	global_load_dwordx4 v[122:125], v63, s[8:9] offset:320
	v_lshrrev_b16_e32 v63, 1, v30
	v_mul_u32_u24_e32 v66, 0x147b, v63
	v_lshrrev_b32_e32 v113, 17, v66
	v_mul_lo_u16_e32 v66, 50, v113
	v_sub_u16_e32 v134, v30, v66
	v_lshlrev_b32_e32 v66, 4, v134
	ds_read2_b32 v[104:105], v78 offset0:70 offset1:205
	ds_read2_b32 v[108:109], v84 offset0:12 offset1:147
	global_load_dwordx4 v[126:129], v66, s[8:9] offset:320
	v_lshrrev_b16_e32 v66, 1, v31
	v_mul_u32_u24_e32 v130, 0x147b, v66
	v_lshrrev_b32_e32 v136, 17, v130
	v_mul_lo_u16_e32 v130, 50, v136
	v_sub_u16_e32 v137, v31, v130
	v_lshlrev_b32_e32 v130, 4, v137
	global_load_dwordx4 v[130:133], v130, s[8:9] offset:320
	v_mul_u32_u24_e32 v62, 0xda75, v62
	v_mul_u32_u24_e32 v52, 0xda75, v52
	;; [unrolled: 1-line block ×4, first 2 shown]
	v_lshrrev_b32_e32 v54, 22, v54
	v_mul_u32_u24_e32 v64, 0xda75, v64
	v_lshrrev_b32_e32 v64, 22, v64
	v_mul_u32_u24_e32 v66, 0xda75, v66
	v_lshrrev_b32_e32 v66, 22, v66
	v_mul_lo_u16_e32 v66, 0x96, v66
	v_sub_u16_e32 v66, v31, v66
	s_waitcnt vmcnt(9) lgkmcnt(1)
	v_mul_f32_e32 v135, v104, v1
	v_mul_f32_e32 v1, v46, v1
	v_fmac_f32_e32 v135, v46, v0
	v_fma_f32 v46, v104, v0, -v1
	s_waitcnt lgkmcnt(0)
	v_mul_f32_e32 v104, v108, v3
	v_mul_f32_e32 v0, v44, v3
	v_fmac_f32_e32 v104, v44, v2
	v_fma_f32 v44, v108, v2, -v0
	s_waitcnt vmcnt(8)
	v_mul_f32_e32 v108, v105, v5
	v_mul_f32_e32 v0, v47, v5
	v_fmac_f32_e32 v108, v47, v4
	v_fma_f32 v4, v105, v4, -v0
	ds_read2_b32 v[0:1], v65 offset0:84 offset1:219
	v_mul_f32_e32 v5, v109, v7
	v_mul_f32_e32 v2, v45, v7
	v_fmac_f32_e32 v5, v45, v6
	v_fma_f32 v6, v109, v6, -v2
	ds_read2_b32 v[2:3], v85 offset0:26 offset1:161
	s_waitcnt vmcnt(7) lgkmcnt(1)
	v_mul_f32_e32 v7, v0, v13
	v_mul_f32_e32 v13, v42, v13
	v_fma_f32 v105, v0, v12, -v13
	v_mul_f32_e32 v0, v40, v15
	s_waitcnt lgkmcnt(0)
	v_fma_f32 v140, v2, v14, -v0
	v_mul_f32_e32 v109, v2, v15
	v_fmac_f32_e32 v7, v42, v12
	s_waitcnt vmcnt(6)
	v_mul_f32_e32 v12, v38, v101
	v_add_f32_e32 v13, v135, v104
	s_waitcnt vmcnt(5)
	v_mul_f32_e32 v141, v1, v9
	v_mul_f32_e32 v0, v43, v9
	v_fmac_f32_e32 v141, v43, v8
	v_fma_f32 v8, v1, v8, -v0
	v_mul_f32_e32 v9, v3, v11
	ds_read2_b32 v[0:1], v55 offset0:98 offset1:233
	v_mul_f32_e32 v2, v41, v11
	v_fmac_f32_e32 v9, v41, v10
	v_fma_f32 v10, v3, v10, -v2
	ds_read2_b32 v[2:3], v70 offset0:40 offset1:175
	s_waitcnt lgkmcnt(1)
	v_mul_f32_e32 v11, v0, v101
	v_fmac_f32_e32 v11, v38, v100
	v_fma_f32 v100, v0, v100, -v12
	v_mul_f32_e32 v0, v36, v103
	s_waitcnt lgkmcnt(0)
	v_mul_f32_e32 v101, v2, v103
	v_fmac_f32_e32 v101, v36, v102
	v_fma_f32 v102, v2, v102, -v0
	s_waitcnt vmcnt(4)
	v_mul_f32_e32 v103, v1, v115
	v_mul_f32_e32 v0, v39, v115
	v_fmac_f32_e32 v103, v39, v114
	v_fma_f32 v114, v1, v114, -v0
	v_mul_f32_e32 v115, v3, v117
	ds_read2_b32 v[0:1], v56 offset0:112 offset1:247
	v_mul_f32_e32 v2, v37, v117
	v_fmac_f32_e32 v115, v37, v116
	v_fma_f32 v116, v3, v116, -v2
	ds_read2_b32 v[2:3], v57 offset0:54 offset1:189
	s_waitcnt vmcnt(3) lgkmcnt(1)
	v_mul_f32_e32 v117, v0, v119
	v_mul_f32_e32 v12, v34, v119
	v_fmac_f32_e32 v117, v34, v118
	v_fma_f32 v118, v0, v118, -v12
	s_waitcnt lgkmcnt(0)
	v_mul_f32_e32 v119, v2, v121
	v_mul_f32_e32 v0, v32, v121
	v_fmac_f32_e32 v119, v32, v120
	v_fma_f32 v120, v2, v120, -v0
	s_waitcnt vmcnt(2)
	v_mul_f32_e32 v121, v1, v123
	v_mul_f32_e32 v0, v35, v123
	v_fmac_f32_e32 v121, v35, v122
	v_fma_f32 v122, v1, v122, -v0
	v_mul_f32_e32 v123, v3, v125
	ds_read2_b32 v[0:1], v48 offset0:62 offset1:197
	v_mul_f32_e32 v2, v33, v125
	v_fmac_f32_e32 v123, v33, v124
	v_fma_f32 v124, v3, v124, -v2
	ds_read2_b32 v[2:3], v49 offset0:68 offset1:203
	s_waitcnt vmcnt(1)
	v_mul_f32_e32 v12, v18, v127
	s_waitcnt lgkmcnt(1)
	v_mul_f32_e32 v125, v0, v127
	v_fma_f32 v0, v0, v126, -v12
	v_mul_f32_e32 v12, v16, v129
	v_fmac_f32_e32 v125, v18, v126
	s_waitcnt lgkmcnt(0)
	v_mul_f32_e32 v126, v2, v129
	v_fma_f32 v2, v2, v128, -v12
	s_waitcnt vmcnt(0)
	v_mul_f32_e32 v12, v19, v131
	v_mul_f32_e32 v127, v1, v131
	v_fma_f32 v1, v1, v130, -v12
	v_mul_f32_e32 v12, v17, v133
	v_fmac_f32_e32 v109, v40, v14
	v_fmac_f32_e32 v126, v16, v128
	v_mul_f32_e32 v128, v3, v133
	v_fma_f32 v3, v3, v132, -v12
	v_add_f32_e32 v12, v111, v135
	v_fmac_f32_e32 v111, -0.5, v13
	v_lshlrev_b32_sdwa v13, v50, v73 dst_sel:DWORD dst_unused:UNUSED_PAD src0_sel:DWORD src1_sel:BYTE_0
	v_mul_u32_u24_e32 v14, 0x258, v69
	v_add3_u32 v73, 0, v14, v13
	v_sub_f32_e32 v13, v46, v44
	v_add_f32_e32 v12, v12, v104
	v_fmamk_f32 v14, v13, 0xbf5db3d7, v111
	v_fmac_f32_e32 v111, 0x3f5db3d7, v13
	v_add_f32_e32 v13, v108, v5
	v_fmac_f32_e32 v127, v19, v130
	v_fmac_f32_e32 v128, v17, v132
	ds_read_b32 v129, v80
	ds_read_b32 v130, v59
	ds_read_b32 v131, v58
	ds_read_b32 v132, v83
	ds_read_b32 v133, v71
	ds_read_b32 v142, v76
	ds_read_b32 v143, v77
	ds_read_b32 v144, v82
	ds_read_b32 v145, v61
	ds_read_b32 v146, v81
	s_waitcnt lgkmcnt(0)
	s_barrier
	ds_write2_b32 v73, v12, v14 offset1:50
	v_add_f32_e32 v12, v110, v108
	v_fmac_f32_e32 v110, -0.5, v13
	v_mul_u32_u24_e32 v13, 0x258, v67
	v_lshlrev_b32_e32 v14, 2, v68
	ds_write_b32 v73, v111 offset:400
	v_add3_u32 v111, 0, v13, v14
	v_sub_f32_e32 v13, v4, v6
	v_add_f32_e32 v12, v12, v5
	v_fmamk_f32 v14, v13, 0xbf5db3d7, v110
	v_fmac_f32_e32 v110, 0x3f5db3d7, v13
	v_add_f32_e32 v13, v7, v109
	ds_write2_b32 v111, v12, v14 offset1:50
	v_add_f32_e32 v12, v95, v7
	v_fmac_f32_e32 v95, -0.5, v13
	v_mul_u32_u24_e32 v13, 0x258, v74
	v_lshlrev_b32_e32 v14, 2, v88
	v_add3_u32 v74, 0, v13, v14
	v_sub_f32_e32 v13, v105, v140
	v_add_f32_e32 v12, v12, v109
	v_fmamk_f32 v14, v13, 0xbf5db3d7, v95
	v_fmac_f32_e32 v95, 0x3f5db3d7, v13
	v_add_f32_e32 v13, v141, v9
	ds_write_b32 v111, v110 offset:400
	ds_write2_b32 v74, v12, v14 offset1:50
	v_add_f32_e32 v12, v112, v141
	v_fmac_f32_e32 v112, -0.5, v13
	v_mul_u32_u24_e32 v13, 0x258, v89
	v_lshlrev_b32_e32 v14, 2, v90
	v_add3_u32 v88, 0, v13, v14
	v_sub_f32_e32 v13, v8, v10
	v_add_f32_e32 v12, v12, v9
	v_fmamk_f32 v14, v13, 0xbf5db3d7, v112
	v_fmac_f32_e32 v112, 0x3f5db3d7, v13
	v_add_f32_e32 v13, v11, v101
	ds_write_b32 v74, v95 offset:400
	;; [unrolled: 12-line block ×4, first 2 shown]
	ds_write2_b32 v90, v12, v14 offset1:50
	v_add_f32_e32 v12, v87, v117
	v_fmac_f32_e32 v87, -0.5, v13
	v_perm_b32 v13, v99, v98, s4
	v_pk_mul_lo_u16 v13, v13, s0 op_sel_hi:[1,0]
	v_lshlrev_b32_e32 v14, 2, v97
	v_and_b32_e32 v15, 0xfff8, v13
	v_add3_u32 v91, 0, v15, v14
	v_sub_f32_e32 v14, v118, v120
	v_add_f32_e32 v12, v12, v119
	v_fmamk_f32 v15, v14, 0xbf5db3d7, v87
	v_fmac_f32_e32 v87, 0x3f5db3d7, v14
	v_add_f32_e32 v14, v121, v123
	ds_write_b32 v90, v94 offset:400
	ds_write2_b32 v91, v12, v15 offset1:50
	v_add_f32_e32 v12, v86, v121
	v_fmac_f32_e32 v86, -0.5, v14
	v_lshrrev_b32_e32 v13, 16, v13
	v_lshlrev_b32_e32 v14, 2, v107
	ds_write_b32 v91, v87 offset:400
	v_add3_u32 v87, 0, v13, v14
	v_sub_f32_e32 v13, v122, v124
	v_add_f32_e32 v12, v12, v123
	v_fmamk_f32 v14, v13, 0xbf5db3d7, v86
	v_fmac_f32_e32 v86, 0x3f5db3d7, v13
	v_add_f32_e32 v13, v125, v126
	ds_write2_b32 v87, v12, v14 offset1:50
	v_add_f32_e32 v12, v72, v125
	v_fmac_f32_e32 v72, -0.5, v13
	v_perm_b32 v13, v136, v113, s4
	v_pk_mul_lo_u16 v13, v13, s0 op_sel_hi:[1,0]
	v_lshlrev_b32_e32 v14, 2, v134
	v_and_b32_e32 v15, 0xfff8, v13
	ds_write_b32 v87, v86 offset:400
	v_add3_u32 v86, 0, v15, v14
	v_sub_f32_e32 v14, v0, v2
	v_add_f32_e32 v12, v12, v126
	v_fmamk_f32 v15, v14, 0xbf5db3d7, v72
	v_fmac_f32_e32 v72, 0x3f5db3d7, v14
	v_add_f32_e32 v14, v127, v128
	ds_write2_b32 v86, v12, v15 offset1:50
	v_add_f32_e32 v12, v60, v127
	v_fmac_f32_e32 v60, -0.5, v14
	v_lshrrev_b32_e32 v13, 16, v13
	v_lshlrev_b32_e32 v14, 2, v137
	v_add3_u32 v92, 0, v13, v14
	v_sub_f32_e32 v13, v1, v3
	v_add_f32_e32 v12, v12, v128
	v_fmamk_f32 v14, v13, 0xbf5db3d7, v60
	ds_write_b32 v86, v72 offset:400
	ds_write2_b32 v92, v12, v14 offset1:50
	v_add_f32_e32 v12, v129, v46
	v_add_f32_e32 v93, v12, v44
	;; [unrolled: 1-line block ×3, first 2 shown]
	v_fmac_f32_e32 v129, -0.5, v12
	v_sub_f32_e32 v94, v135, v104
	v_fmac_f32_e32 v60, 0x3f5db3d7, v13
	v_fmamk_f32 v95, v94, 0x3f5db3d7, v129
	v_fmac_f32_e32 v129, 0xbf5db3d7, v94
	ds_write_b32 v92, v60 offset:400
	s_waitcnt lgkmcnt(0)
	s_barrier
	ds_read_b32 v72, v80
	ds_read_b32 v69, v59
	ds_read_b32 v67, v58
	ds_read_b32 v50, v83
	ds_read_b32 v46, v71
	ds_read_b32 v45, v76
	ds_read_b32 v44, v77
	ds_read_b32 v60, v82
	ds_read_b32 v68, v61
	ds_read_b32 v47, v81
	ds_read2_b32 v[42:43], v78 offset0:70 offset1:205
	ds_read2_b32 v[40:41], v84 offset0:12 offset1:147
	;; [unrolled: 1-line block ×10, first 2 shown]
	s_waitcnt lgkmcnt(0)
	s_barrier
	ds_write2_b32 v73, v93, v95 offset1:50
	ds_write_b32 v73, v129 offset:400
	v_add_f32_e32 v73, v130, v4
	v_add_f32_e32 v4, v4, v6
	v_fmac_f32_e32 v130, -0.5, v4
	v_sub_f32_e32 v4, v108, v5
	v_add_f32_e32 v73, v73, v6
	v_fmamk_f32 v5, v4, 0x3f5db3d7, v130
	ds_write2_b32 v111, v73, v5 offset1:50
	v_add_f32_e32 v5, v105, v140
	v_fmac_f32_e32 v130, 0xbf5db3d7, v4
	v_add_f32_e32 v4, v131, v105
	v_fmac_f32_e32 v131, -0.5, v5
	v_sub_f32_e32 v5, v7, v109
	v_add_f32_e32 v4, v4, v140
	v_fmamk_f32 v6, v5, 0x3f5db3d7, v131
	v_fmac_f32_e32 v131, 0xbf5db3d7, v5
	v_add_f32_e32 v5, v8, v10
	ds_write_b32 v111, v130 offset:400
	ds_write2_b32 v74, v4, v6 offset1:50
	v_add_f32_e32 v4, v145, v8
	v_fmac_f32_e32 v145, -0.5, v5
	v_sub_f32_e32 v5, v141, v9
	v_add_f32_e32 v4, v4, v10
	v_fmamk_f32 v6, v5, 0x3f5db3d7, v145
	v_fmac_f32_e32 v145, 0xbf5db3d7, v5
	v_add_f32_e32 v5, v100, v102
	ds_write_b32 v74, v131 offset:400
	ds_write2_b32 v88, v4, v6 offset1:50
	;; [unrolled: 9-line block ×5, first 2 shown]
	v_add_f32_e32 v4, v133, v122
	v_fmac_f32_e32 v133, -0.5, v5
	v_sub_f32_e32 v5, v121, v123
	v_add_f32_e32 v4, v4, v124
	v_fmamk_f32 v6, v5, 0x3f5db3d7, v133
	ds_write_b32 v91, v146 offset:400
	ds_write2_b32 v87, v4, v6 offset1:50
	v_add_f32_e32 v4, v142, v0
	v_add_f32_e32 v0, v0, v2
	v_fmac_f32_e32 v142, -0.5, v0
	v_sub_f32_e32 v0, v125, v126
	v_fmac_f32_e32 v133, 0xbf5db3d7, v5
	v_add_f32_e32 v4, v4, v2
	v_fmamk_f32 v2, v0, 0x3f5db3d7, v142
	v_fmac_f32_e32 v142, 0xbf5db3d7, v0
	v_add_f32_e32 v0, v143, v1
	v_add_f32_e32 v1, v1, v3
	ds_write_b32 v87, v133 offset:400
	ds_write2_b32 v86, v4, v2 offset1:50
	v_fmac_f32_e32 v143, -0.5, v1
	v_sub_f32_e32 v1, v127, v128
	v_lshlrev_b32_e32 v8, 1, v138
	v_mov_b32_e32 v9, 0
	v_add_u32_e32 v4, -15, v138
	v_cmp_gt_u32_e64 s[0:1], 15, v138
	v_add_f32_e32 v0, v0, v3
	v_fmamk_f32 v2, v1, 0x3f5db3d7, v143
	v_lshl_add_u64 v[10:11], v[8:9], 3, s[8:9]
	v_cndmask_b32_e64 v73, v4, v29, s[0:1]
	v_fmac_f32_e32 v143, 0xbf5db3d7, v1
	ds_write_b32 v86, v142 offset:400
	ds_write2_b32 v92, v0, v2 offset1:50
	ds_write_b32 v92, v143 offset:400
	s_waitcnt lgkmcnt(0)
	s_barrier
	global_load_dwordx4 v[0:3], v[10:11], off offset:1120
	v_lshlrev_b32_e32 v4, 1, v73
	v_mov_b32_e32 v5, v9
	v_lshl_add_u64 v[4:5], v[4:5], 3, s[8:9]
	global_load_dwordx4 v[88:91], v[4:5], off offset:1120
	v_mul_u32_u24_e32 v4, 0xda75, v51
	v_lshrrev_b32_e32 v51, 22, v4
	v_lshrrev_b32_e32 v124, 22, v62
	v_mul_lo_u16_e32 v4, 0x96, v51
	v_mul_lo_u16_e32 v62, 0x96, v124
	v_sub_u16_e32 v74, v28, v4
	v_sub_u16_e32 v125, v27, v62
	v_lshlrev_b32_e32 v4, 4, v74
	v_lshrrev_b32_e32 v86, 22, v52
	v_lshlrev_b32_e32 v62, 4, v125
	global_load_dwordx4 v[4:7], v4, s[8:9] offset:1120
	v_mul_lo_u16_e32 v52, 0x96, v86
	global_load_dwordx4 v[108:111], v62, s[8:9] offset:1120
	v_mul_u32_u24_e32 v62, 0xda75, v63
	v_sub_u16_e32 v52, v25, v52
	v_lshrrev_b32_e32 v126, 22, v62
	v_lshlrev_b32_e32 v87, 4, v52
	v_mul_lo_u16_e32 v62, 0x96, v126
	global_load_dwordx4 v[92:95], v87, s[8:9] offset:1120
	v_sub_u16_e32 v127, v30, v62
	v_lshlrev_b32_e32 v62, 4, v127
	global_load_dwordx4 v[112:115], v62, s[8:9] offset:1120
	v_lshrrev_b32_e32 v87, 22, v53
	v_mul_lo_u16_e32 v53, 0x96, v87
	v_sub_u16_e32 v53, v24, v53
	v_lshlrev_b32_e32 v96, 4, v53
	v_mul_lo_u16_e32 v100, 0x96, v54
	global_load_dwordx4 v[96:99], v96, s[8:9] offset:1120
	v_sub_u16_e32 v122, v139, v100
	v_lshlrev_b32_e32 v100, 4, v122
	global_load_dwordx4 v[100:103], v100, s[8:9] offset:1120
	v_mul_lo_u16_e32 v104, 0x96, v64
	v_sub_u16_e32 v123, v26, v104
	v_lshlrev_b32_e32 v104, 4, v123
	global_load_dwordx4 v[104:107], v104, s[8:9] offset:1120
	v_lshlrev_b32_e32 v116, 4, v66
	global_load_dwordx4 v[116:119], v116, s[8:9] offset:1120
	ds_read2_b32 v[120:121], v78 offset0:70 offset1:205
	ds_read2_b32 v[62:63], v84 offset0:12 offset1:147
	v_cmp_lt_u32_e64 s[0:1], 14, v138
	v_lshl_add_u32 v66, v66, 2, 0
	s_waitcnt vmcnt(9) lgkmcnt(1)
	v_mul_f32_e32 v128, v120, v1
	v_mul_f32_e32 v1, v42, v1
	v_fmac_f32_e32 v128, v42, v0
	v_fma_f32 v42, v120, v0, -v1
	s_waitcnt lgkmcnt(0)
	v_mul_f32_e32 v120, v62, v3
	v_mul_f32_e32 v0, v40, v3
	v_fmac_f32_e32 v120, v40, v2
	v_fma_f32 v40, v62, v2, -v0
	s_waitcnt vmcnt(8)
	v_mul_f32_e32 v62, v121, v89
	v_mul_f32_e32 v0, v43, v89
	v_fmac_f32_e32 v62, v43, v88
	v_fma_f32 v88, v121, v88, -v0
	ds_read2_b32 v[0:1], v65 offset0:84 offset1:219
	v_mul_f32_e32 v2, v41, v91
	v_mul_f32_e32 v89, v63, v91
	v_fma_f32 v63, v63, v90, -v2
	ds_read2_b32 v[2:3], v85 offset0:26 offset1:161
	v_fmac_f32_e32 v89, v41, v90
	s_waitcnt vmcnt(7) lgkmcnt(1)
	v_mul_f32_e32 v90, v0, v5
	v_mul_f32_e32 v5, v38, v5
	v_fma_f32 v91, v0, v4, -v5
	s_waitcnt lgkmcnt(0)
	v_mul_f32_e32 v121, v2, v7
	v_mul_f32_e32 v0, v36, v7
	v_fmac_f32_e32 v121, v36, v6
	v_fma_f32 v36, v2, v6, -v0
	s_waitcnt vmcnt(5)
	v_mul_f32_e32 v129, v1, v93
	v_mul_f32_e32 v0, v39, v93
	v_fmac_f32_e32 v129, v39, v92
	v_fma_f32 v92, v1, v92, -v0
	v_mul_f32_e32 v93, v3, v95
	ds_read2_b32 v[0:1], v55 offset0:98 offset1:233
	v_mul_f32_e32 v2, v37, v95
	v_fmac_f32_e32 v93, v37, v94
	v_fma_f32 v37, v3, v94, -v2
	ds_read2_b32 v[2:3], v70 offset0:40 offset1:175
	v_fmac_f32_e32 v90, v38, v4
	s_waitcnt vmcnt(3) lgkmcnt(1)
	v_mul_f32_e32 v94, v0, v97
	v_mul_f32_e32 v4, v34, v97
	v_fmac_f32_e32 v94, v34, v96
	v_fma_f32 v95, v0, v96, -v4
	s_waitcnt lgkmcnt(0)
	v_mul_f32_e32 v96, v2, v99
	v_mul_f32_e32 v0, v32, v99
	v_fmac_f32_e32 v96, v32, v98
	v_fma_f32 v32, v2, v98, -v0
	s_waitcnt vmcnt(2)
	v_mul_f32_e32 v0, v35, v101
	v_mul_f32_e32 v97, v1, v101
	v_fma_f32 v98, v1, v100, -v0
	ds_read2_b32 v[0:1], v56 offset0:112 offset1:247
	v_mul_f32_e32 v99, v3, v103
	v_mul_f32_e32 v2, v33, v103
	v_fmac_f32_e32 v99, v33, v102
	v_fma_f32 v33, v3, v102, -v2
	ds_read2_b32 v[2:3], v57 offset0:54 offset1:189
	s_waitcnt vmcnt(1)
	v_mul_f32_e32 v4, v18, v105
	v_fmac_f32_e32 v97, v35, v100
	s_waitcnt lgkmcnt(1)
	v_mul_f32_e32 v100, v0, v105
	v_fma_f32 v101, v0, v104, -v4
	v_mul_f32_e32 v0, v16, v107
	s_waitcnt lgkmcnt(0)
	v_fma_f32 v103, v2, v106, -v0
	v_mul_f32_e32 v0, v19, v109
	v_fmac_f32_e32 v100, v18, v104
	v_mul_f32_e32 v102, v2, v107
	v_mul_f32_e32 v104, v1, v109
	v_fma_f32 v105, v1, v108, -v0
	ds_read2_b32 v[0:1], v48 offset0:62 offset1:197
	v_mul_f32_e32 v2, v17, v111
	v_fmac_f32_e32 v102, v16, v106
	v_mul_f32_e32 v106, v3, v111
	v_fma_f32 v107, v3, v110, -v2
	ds_read2_b32 v[2:3], v49 offset0:68 offset1:203
	v_mul_f32_e32 v4, v14, v113
	v_fmac_f32_e32 v104, v19, v108
	s_waitcnt lgkmcnt(1)
	v_mul_f32_e32 v108, v0, v113
	v_fma_f32 v109, v0, v112, -v4
	v_mul_f32_e32 v0, v12, v115
	s_waitcnt lgkmcnt(0)
	v_fma_f32 v111, v2, v114, -v0
	s_waitcnt vmcnt(0)
	v_mul_f32_e32 v0, v15, v117
	v_fmac_f32_e32 v108, v14, v112
	v_mul_f32_e32 v112, v1, v117
	v_fma_f32 v113, v1, v116, -v0
	v_mul_f32_e32 v0, v13, v119
	v_add_f32_e32 v1, v128, v120
	v_fmac_f32_e32 v106, v17, v110
	v_mul_f32_e32 v110, v2, v115
	v_fma_f32 v115, v3, v118, -v0
	v_add_f32_e32 v0, v72, v128
	v_fmac_f32_e32 v72, -0.5, v1
	v_sub_f32_e32 v1, v42, v40
	v_fmac_f32_e32 v110, v12, v114
	v_mul_f32_e32 v114, v3, v119
	v_add_f32_e32 v0, v0, v120
	v_fmamk_f32 v2, v1, 0xbf5db3d7, v72
	v_fmac_f32_e32 v72, 0x3f5db3d7, v1
	v_add_f32_e32 v1, v62, v89
	v_fmac_f32_e32 v112, v15, v116
	v_fmac_f32_e32 v114, v13, v118
	ds_read_b32 v116, v80
	ds_read_b32 v117, v59
	;; [unrolled: 1-line block ×10, first 2 shown]
	s_waitcnt lgkmcnt(0)
	s_barrier
	ds_write2_b32 v80, v0, v2 offset1:150
	v_add_f32_e32 v0, v69, v62
	v_fmac_f32_e32 v69, -0.5, v1
	v_mov_b32_e32 v1, 0x708
	v_cndmask_b32_e64 v1, 0, v1, s[0:1]
	v_lshlrev_b32_e32 v2, 2, v73
	ds_write_b32 v80, v72 offset:1200
	v_add3_u32 v72, 0, v1, v2
	v_sub_f32_e32 v1, v88, v63
	v_add_f32_e32 v0, v0, v89
	v_fmamk_f32 v2, v1, 0xbf5db3d7, v69
	v_fmac_f32_e32 v69, 0x3f5db3d7, v1
	v_add_f32_e32 v1, v90, v121
	ds_write2_b32 v72, v0, v2 offset1:150
	v_add_f32_e32 v0, v67, v90
	v_fmac_f32_e32 v67, -0.5, v1
	v_mul_u32_u24_e32 v1, 0x708, v51
	v_lshlrev_b32_e32 v2, 2, v74
	ds_write_b32 v72, v69 offset:1200
	v_add3_u32 v69, 0, v1, v2
	v_sub_f32_e32 v1, v91, v36
	v_add_f32_e32 v0, v0, v121
	v_fmamk_f32 v2, v1, 0xbf5db3d7, v67
	v_fmac_f32_e32 v67, 0x3f5db3d7, v1
	v_add_f32_e32 v1, v129, v93
	ds_write2_b32 v69, v0, v2 offset1:150
	v_add_f32_e32 v0, v68, v129
	v_fmac_f32_e32 v68, -0.5, v1
	v_perm_b32 v1, v86, v87, s4
	s_movk_i32 s0, 0x708
	v_pk_mul_lo_u16 v1, v1, s0 op_sel_hi:[1,0]
	v_lshlrev_b32_e32 v2, 2, v52
	v_lshrrev_b32_e32 v3, 16, v1
	v_add3_u32 v52, 0, v3, v2
	v_sub_f32_e32 v2, v92, v37
	v_add_f32_e32 v0, v0, v93
	v_fmamk_f32 v3, v2, 0xbf5db3d7, v68
	v_fmac_f32_e32 v68, 0x3f5db3d7, v2
	v_add_f32_e32 v2, v94, v96
	ds_write_b32 v69, v67 offset:1200
	ds_write2_b32 v52, v0, v3 offset1:150
	v_add_f32_e32 v0, v60, v94
	v_fmac_f32_e32 v60, -0.5, v2
	v_and_b32_e32 v1, 0xfff8, v1
	v_lshlrev_b32_e32 v2, 2, v53
	v_add3_u32 v53, 0, v1, v2
	v_sub_f32_e32 v1, v95, v32
	v_add_f32_e32 v0, v0, v96
	v_fmamk_f32 v2, v1, 0xbf5db3d7, v60
	v_fmac_f32_e32 v60, 0x3f5db3d7, v1
	v_add_f32_e32 v1, v97, v99
	ds_write_b32 v52, v68 offset:1200
	ds_write2_b32 v53, v0, v2 offset1:150
	v_add_f32_e32 v0, v50, v97
	v_fmac_f32_e32 v50, -0.5, v1
	v_perm_b32 v1, v64, v54, s4
	v_pk_mul_lo_u16 v1, v1, s0 op_sel_hi:[1,0]
	v_lshlrev_b32_e32 v2, 2, v122
	v_and_b32_e32 v3, 0xfff8, v1
	v_add3_u32 v54, 0, v3, v2
	v_sub_f32_e32 v2, v98, v33
	v_add_f32_e32 v0, v0, v99
	v_fmamk_f32 v3, v2, 0xbf5db3d7, v50
	v_fmac_f32_e32 v50, 0x3f5db3d7, v2
	v_add_f32_e32 v2, v100, v102
	ds_write_b32 v53, v60 offset:1200
	ds_write2_b32 v54, v0, v3 offset1:150
	v_add_f32_e32 v0, v47, v100
	v_fmac_f32_e32 v47, -0.5, v2
	v_lshrrev_b32_e32 v1, 16, v1
	v_lshlrev_b32_e32 v2, 2, v123
	v_add3_u32 v60, 0, v1, v2
	v_sub_f32_e32 v1, v101, v103
	v_add_f32_e32 v0, v0, v102
	v_fmamk_f32 v2, v1, 0xbf5db3d7, v47
	v_fmac_f32_e32 v47, 0x3f5db3d7, v1
	v_add_f32_e32 v1, v104, v106
	ds_write_b32 v54, v50 offset:1200
	ds_write2_b32 v60, v0, v2 offset1:150
	v_add_f32_e32 v0, v46, v104
	v_fmac_f32_e32 v46, -0.5, v1
	v_mul_u32_u24_e32 v1, 0x708, v124
	v_lshlrev_b32_e32 v2, 2, v125
	v_add3_u32 v64, 0, v1, v2
	v_sub_f32_e32 v1, v105, v107
	v_add_f32_e32 v0, v0, v106
	v_fmamk_f32 v2, v1, 0xbf5db3d7, v46
	v_fmac_f32_e32 v46, 0x3f5db3d7, v1
	v_add_f32_e32 v1, v108, v110
	ds_write_b32 v60, v47 offset:1200
	ds_write2_b32 v64, v0, v2 offset1:150
	v_add_f32_e32 v0, v45, v108
	v_fmac_f32_e32 v45, -0.5, v1
	v_mul_u32_u24_e32 v1, 0x708, v126
	v_lshlrev_b32_e32 v2, 2, v127
	v_add3_u32 v67, 0, v1, v2
	v_sub_f32_e32 v1, v109, v111
	v_add_f32_e32 v0, v0, v110
	v_fmamk_f32 v2, v1, 0xbf5db3d7, v45
	v_fmac_f32_e32 v45, 0x3f5db3d7, v1
	v_add_f32_e32 v1, v112, v114
	ds_write_b32 v64, v46 offset:1200
	ds_write2_b32 v67, v0, v2 offset1:150
	v_add_f32_e32 v0, v44, v112
	v_fmac_f32_e32 v44, -0.5, v1
	v_sub_f32_e32 v1, v113, v115
	v_add_f32_e32 v0, v0, v114
	v_fmamk_f32 v2, v1, 0xbf5db3d7, v44
	v_add_u32_e32 v68, 0x3800, v66
	ds_write_b32 v67, v45 offset:1200
	ds_write2_b32 v68, v0, v2 offset0:16 offset1:166
	v_add_f32_e32 v0, v116, v42
	v_add_f32_e32 v73, v0, v40
	;; [unrolled: 1-line block ×3, first 2 shown]
	v_fmac_f32_e32 v116, -0.5, v0
	v_sub_f32_e32 v74, v128, v120
	v_fmac_f32_e32 v44, 0x3f5db3d7, v1
	v_fmamk_f32 v86, v74, 0x3f5db3d7, v116
	ds_write_b32 v66, v44 offset:15600
	s_waitcnt lgkmcnt(0)
	s_barrier
	ds_read_b32 v50, v80
	ds_read_b32 v47, v59
	;; [unrolled: 1-line block ×10, first 2 shown]
	ds_read2_b32 v[38:39], v78 offset0:70 offset1:205
	ds_read2_b32 v[34:35], v84 offset0:12 offset1:147
	;; [unrolled: 1-line block ×10, first 2 shown]
	s_waitcnt lgkmcnt(0)
	s_barrier
	ds_write2_b32 v80, v73, v86 offset1:150
	v_add_f32_e32 v73, v117, v88
	v_add_f32_e32 v73, v73, v63
	;; [unrolled: 1-line block ×3, first 2 shown]
	v_fmac_f32_e32 v117, -0.5, v63
	v_sub_f32_e32 v62, v62, v89
	v_fmamk_f32 v63, v62, 0x3f5db3d7, v117
	v_fmac_f32_e32 v117, 0xbf5db3d7, v62
	v_add_f32_e32 v62, v118, v91
	v_add_f32_e32 v62, v62, v36
	v_add_f32_e32 v36, v91, v36
	v_fmac_f32_e32 v116, 0xbf5db3d7, v74
	v_fmac_f32_e32 v118, -0.5, v36
	v_sub_f32_e32 v36, v90, v121
	ds_write_b32 v80, v116 offset:1200
	ds_write2_b32 v72, v73, v63 offset1:150
	v_fmamk_f32 v63, v36, 0x3f5db3d7, v118
	v_fmac_f32_e32 v118, 0xbf5db3d7, v36
	v_add_f32_e32 v36, v134, v92
	v_add_f32_e32 v36, v36, v37
	;; [unrolled: 1-line block ×3, first 2 shown]
	v_fmac_f32_e32 v134, -0.5, v37
	v_sub_f32_e32 v37, v129, v93
	ds_write_b32 v72, v117 offset:1200
	ds_write2_b32 v69, v62, v63 offset1:150
	v_fmamk_f32 v62, v37, 0x3f5db3d7, v134
	ds_write_b32 v69, v118 offset:1200
	ds_write2_b32 v52, v36, v62 offset1:150
	v_add_f32_e32 v36, v133, v95
	v_add_f32_e32 v36, v36, v32
	;; [unrolled: 1-line block ×3, first 2 shown]
	v_fmac_f32_e32 v133, -0.5, v32
	v_sub_f32_e32 v32, v94, v96
	v_fmac_f32_e32 v134, 0xbf5db3d7, v37
	v_fmamk_f32 v37, v32, 0x3f5db3d7, v133
	v_fmac_f32_e32 v133, 0xbf5db3d7, v32
	v_add_f32_e32 v32, v119, v98
	v_add_f32_e32 v32, v32, v33
	;; [unrolled: 1-line block ×3, first 2 shown]
	v_fmac_f32_e32 v119, -0.5, v33
	v_sub_f32_e32 v33, v97, v99
	ds_write_b32 v52, v134 offset:1200
	ds_write2_b32 v53, v36, v37 offset1:150
	v_fmamk_f32 v36, v33, 0x3f5db3d7, v119
	v_fmac_f32_e32 v119, 0xbf5db3d7, v33
	v_add_f32_e32 v33, v101, v103
	ds_write_b32 v53, v133 offset:1200
	ds_write2_b32 v54, v32, v36 offset1:150
	v_add_f32_e32 v32, v135, v101
	v_fmac_f32_e32 v135, -0.5, v33
	v_sub_f32_e32 v33, v100, v102
	v_add_f32_e32 v32, v32, v103
	v_fmamk_f32 v36, v33, 0x3f5db3d7, v135
	v_fmac_f32_e32 v135, 0xbf5db3d7, v33
	v_add_f32_e32 v33, v105, v107
	ds_write_b32 v54, v119 offset:1200
	ds_write2_b32 v60, v32, v36 offset1:150
	v_add_f32_e32 v32, v130, v105
	v_fmac_f32_e32 v130, -0.5, v33
	v_sub_f32_e32 v33, v104, v106
	v_add_f32_e32 v32, v32, v107
	v_fmamk_f32 v36, v33, 0x3f5db3d7, v130
	v_fmac_f32_e32 v130, 0xbf5db3d7, v33
	v_add_f32_e32 v33, v109, v111
	ds_write_b32 v60, v135 offset:1200
	ds_write2_b32 v64, v32, v36 offset1:150
	v_add_f32_e32 v32, v131, v109
	v_fmac_f32_e32 v131, -0.5, v33
	v_sub_f32_e32 v33, v108, v110
	v_add_f32_e32 v37, v113, v115
	v_add_f32_e32 v32, v32, v111
	v_fmamk_f32 v36, v33, 0x3f5db3d7, v131
	v_fmac_f32_e32 v131, 0xbf5db3d7, v33
	v_add_f32_e32 v33, v132, v113
	v_fmac_f32_e32 v132, -0.5, v37
	v_sub_f32_e32 v37, v112, v114
	ds_write_b32 v64, v130 offset:1200
	v_add_f32_e32 v33, v33, v115
	v_fmamk_f32 v52, v37, 0x3f5db3d7, v132
	v_fmac_f32_e32 v132, 0xbf5db3d7, v37
	ds_write2_b32 v67, v32, v36 offset1:150
	ds_write_b32 v67, v131 offset:1200
	ds_write2_b32 v68, v33, v52 offset0:16 offset1:166
	ds_write_b32 v66, v132 offset:15600
	s_waitcnt lgkmcnt(0)
	s_barrier
	global_load_dwordx4 v[66:69], v[10:11], off offset:3520
	v_lshlrev_b32_e32 v32, 1, v29
	v_mov_b32_e32 v33, v9
	v_lshl_add_u64 v[36:37], v[32:33], 3, s[8:9]
	global_load_dwordx4 v[86:89], v[36:37], off offset:3520
	v_lshlrev_b32_e32 v32, 1, v28
	v_subrev_u32_e32 v52, 45, v138
	v_cmp_gt_u32_e64 s[0:1], 45, v138
	v_lshl_add_u64 v[32:33], v[32:33], 3, s[8:9]
	global_load_dwordx4 v[90:93], v[32:33], off offset:3520
	v_cndmask_b32_e64 v54, v52, v25, s[0:1]
	v_lshlrev_b32_e32 v52, 1, v54
	v_mov_b32_e32 v53, v9
	v_lshl_add_u64 v[52:53], v[52:53], 3, s[8:9]
	global_load_dwordx4 v[94:97], v[52:53], off offset:3520
	v_add_u32_e32 v52, 0xb4, v8
	v_mov_b32_e32 v53, v9
	v_lshl_add_u64 v[52:53], v[52:53], 3, s[8:9]
	global_load_dwordx4 v[98:101], v[52:53], off offset:3520
	v_add_u32_e32 v8, 0x1c2, v8
	v_lshl_add_u64 v[52:53], v[8:9], 3, s[8:9]
	global_load_dwordx4 v[102:105], v[52:53], off offset:3520
	s_mov_b32 s1, 0x91a3
	s_movk_i32 s0, 0x1c2
	v_mul_u32_u24_sdwa v8, v26, s1 dst_sel:DWORD dst_unused:UNUSED_PAD src0_sel:WORD_0 src1_sel:DWORD
	v_mul_u32_u24_sdwa v62, v30, s1 dst_sel:DWORD dst_unused:UNUSED_PAD src0_sel:WORD_0 src1_sel:DWORD
	v_mul_lo_u16_sdwa v52, v8, s0 dst_sel:DWORD dst_unused:UNUSED_PAD src0_sel:BYTE_3 src1_sel:DWORD
	v_mul_lo_u16_sdwa v62, v62, s0 dst_sel:DWORD dst_unused:UNUSED_PAD src0_sel:BYTE_3 src1_sel:DWORD
	v_sub_u16_e32 v60, v26, v52
	v_sub_u16_e32 v72, v30, v62
	v_lshlrev_b32_e32 v52, 4, v60
	v_lshlrev_b32_e32 v62, 4, v72
	global_load_dwordx4 v[106:109], v52, s[8:9] offset:3520
	global_load_dwordx4 v[114:117], v62, s[8:9] offset:3520
	v_mul_u32_u24_sdwa v52, v27, s1 dst_sel:DWORD dst_unused:UNUSED_PAD src0_sel:WORD_0 src1_sel:DWORD
	v_mul_lo_u16_sdwa v52, v52, s0 dst_sel:DWORD dst_unused:UNUSED_PAD src0_sel:BYTE_3 src1_sel:DWORD
	v_sub_u16_e32 v64, v27, v52
	v_lshlrev_b32_e32 v52, 4, v64
	global_load_dwordx4 v[110:113], v52, s[8:9] offset:3520
	v_mul_u32_u24_sdwa v74, v31, s1 dst_sel:DWORD dst_unused:UNUSED_PAD src0_sel:WORD_0 src1_sel:DWORD
	v_mul_lo_u16_sdwa v74, v74, s0 dst_sel:DWORD dst_unused:UNUSED_PAD src0_sel:BYTE_3 src1_sel:DWORD
	v_sub_u16_e32 v74, v31, v74
	v_lshlrev_b32_e32 v118, 4, v74
	global_load_dwordx4 v[118:121], v118, s[8:9] offset:3520
	ds_read2_b32 v[52:53], v78 offset0:70 offset1:205
	ds_read2_b32 v[62:63], v84 offset0:12 offset1:147
	v_cmp_lt_u32_e64 s[0:1], 44, v138
	v_lshl_add_u32 v72, v72, 2, 0
	v_lshl_add_u32 v124, v74, 2, 0
	s_waitcnt vmcnt(9) lgkmcnt(1)
	v_mul_f32_e32 v73, v52, v67
	v_fmac_f32_e32 v73, v38, v66
	v_mul_f32_e32 v38, v38, v67
	v_fma_f32 v52, v52, v66, -v38
	s_waitcnt lgkmcnt(0)
	v_mul_f32_e32 v66, v62, v69
	v_fmac_f32_e32 v66, v34, v68
	v_mul_f32_e32 v34, v34, v69
	v_fma_f32 v62, v62, v68, -v34
	s_waitcnt vmcnt(8)
	v_mul_f32_e32 v34, v39, v87
	v_mul_f32_e32 v67, v53, v87
	v_fma_f32 v53, v53, v86, -v34
	v_mul_f32_e32 v68, v63, v89
	v_mul_f32_e32 v34, v35, v89
	v_fmac_f32_e32 v68, v35, v88
	v_fma_f32 v63, v63, v88, -v34
	ds_read2_b32 v[34:35], v85 offset0:26 offset1:161
	v_fmac_f32_e32 v67, v39, v86
	ds_read2_b32 v[38:39], v65 offset0:84 offset1:219
	s_waitcnt vmcnt(7) lgkmcnt(1)
	v_mul_f32_e32 v88, v34, v93
	v_fmac_f32_e32 v88, v16, v92
	s_waitcnt lgkmcnt(0)
	v_mul_f32_e32 v86, v38, v91
	v_mul_f32_e32 v16, v16, v93
	v_fmac_f32_e32 v86, v18, v90
	v_mul_f32_e32 v18, v18, v91
	v_fma_f32 v89, v34, v92, -v16
	s_waitcnt vmcnt(6)
	v_mul_f32_e32 v16, v19, v95
	v_fma_f32 v87, v38, v90, -v18
	v_mul_f32_e32 v90, v39, v95
	v_fma_f32 v39, v39, v94, -v16
	v_mul_f32_e32 v91, v35, v97
	v_mul_f32_e32 v16, v17, v97
	v_fmac_f32_e32 v91, v17, v96
	v_fma_f32 v35, v35, v96, -v16
	ds_read2_b32 v[16:17], v70 offset0:40 offset1:175
	v_fmac_f32_e32 v90, v19, v94
	ds_read2_b32 v[18:19], v55 offset0:98 offset1:233
	s_waitcnt vmcnt(5) lgkmcnt(1)
	v_mul_f32_e32 v93, v16, v101
	v_fmac_f32_e32 v93, v12, v100
	v_mul_f32_e32 v12, v12, v101
	v_fma_f32 v94, v16, v100, -v12
	s_waitcnt vmcnt(4)
	v_mul_f32_e32 v12, v15, v103
	s_waitcnt lgkmcnt(0)
	v_mul_f32_e32 v95, v19, v103
	v_fma_f32 v19, v19, v102, -v12
	v_mul_f32_e32 v96, v17, v105
	v_mul_f32_e32 v12, v13, v105
	v_fmac_f32_e32 v96, v13, v104
	v_fma_f32 v97, v17, v104, -v12
	ds_read2_b32 v[12:13], v57 offset0:54 offset1:189
	v_mul_f32_e32 v92, v18, v99
	v_fmac_f32_e32 v92, v14, v98
	v_mul_f32_e32 v14, v14, v99
	v_fma_f32 v18, v18, v98, -v14
	v_fmac_f32_e32 v95, v15, v102
	ds_read2_b32 v[14:15], v56 offset0:112 offset1:247
	s_waitcnt vmcnt(3) lgkmcnt(1)
	v_mul_f32_e32 v100, v12, v109
	v_fmac_f32_e32 v100, v4, v108
	v_mul_f32_e32 v4, v4, v109
	v_fma_f32 v101, v12, v108, -v4
	s_waitcnt vmcnt(1)
	v_mul_f32_e32 v4, v7, v111
	s_waitcnt lgkmcnt(0)
	v_mul_f32_e32 v98, v14, v107
	v_fma_f32 v103, v15, v110, -v4
	v_mul_f32_e32 v104, v13, v113
	v_mul_f32_e32 v4, v5, v113
	v_fmac_f32_e32 v98, v6, v106
	v_mul_f32_e32 v6, v6, v107
	v_mul_f32_e32 v102, v15, v111
	v_fmac_f32_e32 v104, v5, v112
	v_fma_f32 v13, v13, v112, -v4
	ds_read2_b32 v[4:5], v49 offset0:68 offset1:203
	v_fma_f32 v99, v14, v106, -v6
	v_fmac_f32_e32 v102, v7, v110
	ds_read2_b32 v[6:7], v48 offset0:62 offset1:197
	v_add_f32_e32 v14, v90, v91
	s_waitcnt lgkmcnt(1)
	v_mul_f32_e32 v107, v4, v117
	v_fmac_f32_e32 v107, v0, v116
	v_mul_f32_e32 v0, v0, v117
	s_waitcnt lgkmcnt(0)
	v_mul_f32_e32 v105, v6, v115
	v_fmac_f32_e32 v105, v2, v114
	v_mul_f32_e32 v2, v2, v115
	v_fma_f32 v108, v4, v116, -v0
	s_waitcnt vmcnt(0)
	v_mul_f32_e32 v0, v3, v119
	v_fma_f32 v106, v6, v114, -v2
	v_mul_f32_e32 v109, v7, v119
	v_fma_f32 v7, v7, v118, -v0
	v_mul_f32_e32 v110, v5, v121
	v_mul_f32_e32 v0, v1, v121
	v_add_f32_e32 v2, v73, v66
	v_fmac_f32_e32 v110, v1, v120
	v_fma_f32 v1, v5, v120, -v0
	v_add_f32_e32 v0, v50, v73
	v_fmac_f32_e32 v50, -0.5, v2
	v_sub_f32_e32 v2, v52, v62
	v_add_f32_e32 v4, v67, v68
	v_fmac_f32_e32 v109, v3, v118
	v_fmamk_f32 v3, v2, 0xbf5db3d7, v50
	v_fmac_f32_e32 v50, 0x3f5db3d7, v2
	v_add_f32_e32 v2, v47, v67
	v_fmac_f32_e32 v47, -0.5, v4
	v_sub_f32_e32 v4, v53, v63
	v_add_f32_e32 v0, v0, v66
	v_fmamk_f32 v5, v4, 0xbf5db3d7, v47
	v_fmac_f32_e32 v47, 0x3f5db3d7, v4
	v_add_f32_e32 v4, v46, v86
	v_add_f32_e32 v6, v86, v88
	ds_read_b32 v111, v80
	ds_read_b32 v112, v59
	ds_read_b32 v113, v58
	ds_read_b32 v114, v83
	ds_read_b32 v115, v71
	ds_read_b32 v116, v76
	ds_read_b32 v117, v77
	ds_read_b32 v118, v82
	ds_read_b32 v119, v61
	ds_read_b32 v120, v81
	s_waitcnt lgkmcnt(0)
	s_barrier
	ds_write_b32 v80, v0
	ds_write_b32 v80, v3 offset:1800
	ds_write_b32 v80, v50 offset:3600
	v_add_f32_e32 v0, v2, v68
	v_fmac_f32_e32 v46, -0.5, v6
	v_sub_f32_e32 v6, v87, v89
	ds_write_b32 v59, v0
	ds_write_b32 v59, v5 offset:1800
	ds_write_b32 v59, v47 offset:3600
	v_add_f32_e32 v0, v4, v88
	v_fmamk_f32 v12, v6, 0xbf5db3d7, v46
	v_fmac_f32_e32 v46, 0x3f5db3d7, v6
	ds_write_b32 v58, v0
	ds_write_b32 v58, v12 offset:1800
	ds_write_b32 v58, v46 offset:3600
	v_mov_b32_e32 v0, 0x1518
	v_add_f32_e32 v6, v51, v90
	v_cndmask_b32_e64 v0, 0, v0, s[0:1]
	v_lshlrev_b32_e32 v2, 2, v54
	v_fmac_f32_e32 v51, -0.5, v14
	v_sub_f32_e32 v14, v39, v35
	v_add3_u32 v47, 0, v0, v2
	v_add_f32_e32 v0, v6, v91
	v_fmamk_f32 v15, v14, 0xbf5db3d7, v51
	v_fmac_f32_e32 v51, 0x3f5db3d7, v14
	ds_write_b32 v47, v0
	ds_write_b32 v47, v15 offset:1800
	ds_write_b32 v47, v51 offset:3600
	v_add_f32_e32 v0, v45, v92
	v_add_f32_e32 v2, v44, v95
	v_lshl_add_u32 v3, v138, 2, 0
	v_add_f32_e32 v0, v0, v93
	v_add_f32_e32 v2, v2, v96
	v_add_u32_e32 v121, 0x1600, v3
	ds_write2_b32 v121, v0, v2 offset0:32 offset1:167
	v_add_f32_e32 v0, v92, v93
	v_fmac_f32_e32 v45, -0.5, v0
	v_add_f32_e32 v0, v95, v96
	v_fmac_f32_e32 v44, -0.5, v0
	v_sub_f32_e32 v0, v18, v94
	v_sub_f32_e32 v4, v19, v97
	v_fmamk_f32 v2, v0, 0xbf5db3d7, v45
	v_fmamk_f32 v5, v4, 0xbf5db3d7, v44
	v_fmac_f32_e32 v45, 0x3f5db3d7, v0
	v_fmac_f32_e32 v44, 0x3f5db3d7, v4
	v_add_u32_e32 v123, 0x2400, v3
	v_add_f32_e32 v0, v111, v52
	ds_write2_b32 v123, v45, v44 offset0:36 offset1:171
	v_add_f32_e32 v44, v0, v62
	v_add_f32_e32 v0, v52, v62
	v_fmac_f32_e32 v111, -0.5, v0
	v_sub_f32_e32 v0, v73, v66
	v_fmamk_f32 v45, v0, 0x3f5db3d7, v111
	v_fmac_f32_e32 v111, 0xbf5db3d7, v0
	v_add_f32_e32 v0, v112, v53
	v_add_u32_e32 v122, 0x1c00, v3
	v_add_f32_e32 v62, v0, v63
	v_add_f32_e32 v0, v53, v63
	ds_write2_b32 v122, v2, v5 offset0:98 offset1:233
	v_fmac_f32_e32 v112, -0.5, v0
	v_sub_f32_e32 v0, v67, v68
	v_add_f32_e32 v2, v98, v100
	v_fmamk_f32 v63, v0, 0x3f5db3d7, v112
	v_fmac_f32_e32 v112, 0xbf5db3d7, v0
	v_add_f32_e32 v0, v43, v98
	v_fmac_f32_e32 v43, -0.5, v2
	v_sub_f32_e32 v2, v99, v101
	v_add_f32_e32 v4, v102, v104
	v_fmamk_f32 v3, v2, 0xbf5db3d7, v43
	v_fmac_f32_e32 v43, 0x3f5db3d7, v2
	v_add_f32_e32 v2, v42, v102
	;; [unrolled: 6-line block ×4, first 2 shown]
	v_fmac_f32_e32 v40, -0.5, v14
	v_sub_f32_e32 v14, v7, v1
	s_movk_i32 s0, 0x1518
	v_fmamk_f32 v15, v14, 0xbf5db3d7, v40
	v_fmac_f32_e32 v40, 0x3f5db3d7, v14
	v_mul_u32_u24_sdwa v8, v8, s0 dst_sel:DWORD dst_unused:UNUSED_PAD src0_sel:BYTE_3 src1_sel:DWORD
	v_lshlrev_b32_e32 v14, 2, v60
	v_add3_u32 v8, 0, v8, v14
	v_add_f32_e32 v0, v0, v100
	ds_write_b32 v8, v0
	ds_write_b32 v8, v3 offset:1800
	ds_write_b32 v8, v43 offset:3600
	v_add_f32_e32 v0, v2, v104
	v_lshl_add_u32 v73, v64, 2, 0
	ds_write_b32 v73, v0 offset:10800
	ds_write_b32 v73, v5 offset:12600
	;; [unrolled: 1-line block ×3, first 2 shown]
	v_add_f32_e32 v0, v4, v107
	ds_write_b32 v72, v0 offset:10800
	ds_write_b32 v72, v12 offset:12600
	;; [unrolled: 1-line block ×3, first 2 shown]
	v_add_f32_e32 v0, v6, v110
	ds_write_b32 v124, v0 offset:10800
	ds_write_b32 v124, v15 offset:12600
	;; [unrolled: 1-line block ×3, first 2 shown]
	s_waitcnt lgkmcnt(0)
	s_barrier
	ds_read_b32 v74, v80
	ds_read2_b32 v[68:69], v78 offset0:70 offset1:205
	ds_read2_b32 v[66:67], v84 offset0:12 offset1:147
	ds_read_b32 v64, v59
	ds_read_b32 v60, v58
	ds_read2_b32 v[52:53], v65 offset0:84 offset1:219
	ds_read2_b32 v[50:51], v85 offset0:26 offset1:161
	;; [unrolled: 1-line block ×4, first 2 shown]
	ds_read_b32 v38, v83
	ds_read_b32 v12, v71
	;; [unrolled: 1-line block ×7, first 2 shown]
	ds_read2_b32 v[16:17], v56 offset0:112 offset1:247
	ds_read2_b32 v[14:15], v57 offset0:54 offset1:189
	;; [unrolled: 1-line block ×4, first 2 shown]
	s_waitcnt lgkmcnt(0)
	s_barrier
	ds_write_b32 v80, v44
	ds_write_b32 v80, v45 offset:1800
	ds_write_b32 v80, v111 offset:3600
	ds_write_b32 v59, v62
	ds_write_b32 v59, v63 offset:1800
	ds_write_b32 v59, v112 offset:3600
	v_add_f32_e32 v44, v113, v87
	v_add_f32_e32 v45, v87, v89
	;; [unrolled: 1-line block ×3, first 2 shown]
	v_fmac_f32_e32 v113, -0.5, v45
	v_sub_f32_e32 v45, v86, v88
	v_fmamk_f32 v59, v45, 0x3f5db3d7, v113
	v_fmac_f32_e32 v113, 0xbf5db3d7, v45
	ds_write_b32 v58, v44
	ds_write_b32 v58, v59 offset:1800
	ds_write_b32 v58, v113 offset:3600
	v_add_f32_e32 v44, v119, v39
	v_add_f32_e32 v44, v44, v35
	;; [unrolled: 1-line block ×3, first 2 shown]
	v_fmac_f32_e32 v119, -0.5, v35
	v_sub_f32_e32 v35, v90, v91
	v_fmamk_f32 v39, v35, 0x3f5db3d7, v119
	v_fmac_f32_e32 v119, 0xbf5db3d7, v35
	ds_write_b32 v47, v44
	ds_write_b32 v47, v39 offset:1800
	ds_write_b32 v47, v119 offset:3600
	v_add_f32_e32 v35, v118, v18
	v_add_f32_e32 v39, v114, v19
	;; [unrolled: 1-line block ×6, first 2 shown]
	v_fmac_f32_e32 v118, -0.5, v18
	v_sub_f32_e32 v18, v92, v93
	v_fmac_f32_e32 v114, -0.5, v19
	v_sub_f32_e32 v19, v95, v96
	ds_write2_b32 v121, v35, v39 offset0:32 offset1:167
	v_fmamk_f32 v35, v18, 0x3f5db3d7, v118
	v_fmamk_f32 v39, v19, 0x3f5db3d7, v114
	v_fmac_f32_e32 v118, 0xbf5db3d7, v18
	v_fmac_f32_e32 v114, 0xbf5db3d7, v19
	v_add_f32_e32 v18, v120, v99
	v_add_f32_e32 v19, v99, v101
	;; [unrolled: 1-line block ×3, first 2 shown]
	v_fmac_f32_e32 v120, -0.5, v19
	v_sub_f32_e32 v19, v98, v100
	ds_write2_b32 v122, v35, v39 offset0:98 offset1:233
	ds_write2_b32 v123, v118, v114 offset0:36 offset1:171
	v_fmamk_f32 v35, v19, 0x3f5db3d7, v120
	v_fmac_f32_e32 v120, 0xbf5db3d7, v19
	ds_write_b32 v8, v18
	ds_write_b32 v8, v35 offset:1800
	ds_write_b32 v8, v120 offset:3600
	v_add_f32_e32 v8, v115, v103
	v_add_f32_e32 v8, v8, v13
	v_add_f32_e32 v13, v103, v13
	v_fmac_f32_e32 v115, -0.5, v13
	v_sub_f32_e32 v13, v102, v104
	v_fmamk_f32 v18, v13, 0x3f5db3d7, v115
	v_fmac_f32_e32 v115, 0xbf5db3d7, v13
	ds_write_b32 v73, v8 offset:10800
	ds_write_b32 v73, v18 offset:12600
	;; [unrolled: 1-line block ×3, first 2 shown]
	v_add_f32_e32 v8, v116, v106
	v_add_f32_e32 v13, v106, v108
	;; [unrolled: 1-line block ×3, first 2 shown]
	v_fmac_f32_e32 v116, -0.5, v13
	v_sub_f32_e32 v13, v105, v107
	v_fmamk_f32 v18, v13, 0x3f5db3d7, v116
	v_fmac_f32_e32 v116, 0xbf5db3d7, v13
	ds_write_b32 v72, v8 offset:10800
	ds_write_b32 v72, v18 offset:12600
	ds_write_b32 v72, v116 offset:14400
	v_add_f32_e32 v8, v117, v7
	v_add_f32_e32 v8, v8, v1
	;; [unrolled: 1-line block ×3, first 2 shown]
	v_fmac_f32_e32 v117, -0.5, v1
	v_sub_f32_e32 v1, v109, v110
	s_movk_i32 s1, 0x2000
	s_mov_b32 s0, 0x3f5db3d7
	v_fmamk_f32 v7, v1, 0x3f5db3d7, v117
	v_fmac_f32_e32 v117, 0xbf5db3d7, v1
	ds_write_b32 v124, v8 offset:10800
	ds_write_b32 v124, v7 offset:12600
	;; [unrolled: 1-line block ×3, first 2 shown]
	s_waitcnt lgkmcnt(0)
	s_barrier
	s_and_saveexec_b64 s[4:5], vcc
	s_cbranch_execz .LBB0_15
; %bb.14:
	v_add_co_u32_e32 v10, vcc, s1, v10
	v_lshlrev_b32_e32 v8, 1, v31
	s_nop 0
	v_addc_co_u32_e32 v11, vcc, 0, v11, vcc
	global_load_dwordx4 v[86:89], v[10:11], off offset:2528
	v_mul_lo_u32 v1, s3, v22
	v_mul_lo_u32 v7, s2, v23
	v_mad_u64_u32 v[90:91], s[2:3], s2, v22, 0
	v_lshl_add_u64 v[22:23], v[8:9], 3, s[8:9]
	v_lshlrev_b32_e32 v8, 1, v30
	v_lshl_add_u64 v[44:45], v[8:9], 3, s[8:9]
	v_lshlrev_b32_e32 v8, 1, v27
	ds_read2_b32 v[18:19], v48 offset0:62 offset1:197
	ds_read2_b32 v[10:11], v49 offset0:68 offset1:203
	v_lshl_add_u64 v[48:49], v[8:9], 3, s[8:9]
	v_lshlrev_b32_e32 v8, 1, v26
	v_lshl_add_u64 v[58:59], v[8:9], 3, s[8:9]
	v_lshlrev_b32_e32 v8, 1, v139
	;; [unrolled: 2-line block ×3, first 2 shown]
	v_mul_i32_i24_e32 v92, 0xffffffdc, v28
	v_lshl_add_u64 v[72:73], v[8:9], 3, s[8:9]
	v_lshlrev_b32_e32 v8, 1, v25
	v_add_co_u32_e32 v36, vcc, s1, v36
	v_mul_i32_i24_e32 v35, 0xffffffdc, v29
	v_add3_u32 v91, v91, v7, v1
	ds_read2_b32 v[30:31], v56 offset0:112 offset1:247
	ds_read2_b32 v[28:29], v57 offset0:54 offset1:189
	;; [unrolled: 1-line block ×4, first 2 shown]
	ds_read_b32 v1, v77
	ds_read_b32 v7, v76
	;; [unrolled: 1-line block ×6, first 2 shown]
	v_lshl_add_u64 v[76:77], v[8:9], 3, s[8:9]
	v_add_u32_e32 v8, v75, v92
	v_addc_co_u32_e32 v37, vcc, 0, v37, vcc
	ds_read2_b32 v[70:71], v65 offset0:84 offset1:219
	ds_read2_b32 v[24:25], v85 offset0:26 offset1:161
	v_add_u32_e32 v9, v79, v35
	ds_read_b32 v61, v8
	ds_read_b32 v65, v9
	ds_read2_b32 v[92:93], v78 offset0:70 offset1:205
	ds_read2_b32 v[94:95], v84 offset0:12 offset1:147
	ds_read_b32 v35, v81
	ds_read_b32 v75, v80
	global_load_dwordx4 v[78:81], v[36:37], off offset:2528
	s_mov_b32 s2, 0xc22e4507
	v_mul_hi_u32 v8, v138, s2
	v_lshrrev_b32_e32 v8, 10, v8
	v_mul_u32_u24_e32 v8, 0x546, v8
	v_sub_u32_e32 v84, v138, v8
	v_mad_u64_u32 v[82:83], s[4:5], s16, v84, 0
	v_mov_b32_e32 v8, v83
	v_mad_u64_u32 v[8:9], s[4:5], s17, v84, v[8:9]
	v_mov_b32_e32 v83, v8
	v_lshl_add_u64 v[8:9], v[90:91], 3, s[6:7]
	v_lshl_add_u64 v[8:9], v[20:21], 3, v[8:9]
	;; [unrolled: 1-line block ×3, first 2 shown]
	v_add_u32_e32 v83, 0x546, v84
	v_mad_u64_u32 v[36:37], s[4:5], s16, v83, 0
	v_mov_b32_e32 v82, v37
	v_mad_u64_u32 v[82:83], s[4:5], s17, v83, v[82:83]
	v_add_u32_e32 v85, 0xa8c, v84
	v_mov_b32_e32 v37, v82
	v_mad_u64_u32 v[82:83], s[4:5], s16, v85, 0
	v_mov_b32_e32 v84, v83
	v_mad_u64_u32 v[84:85], s[4:5], s17, v85, v[84:85]
	v_mov_b32_e32 v83, v84
	v_add_co_u32_e32 v32, vcc, s1, v32
	v_lshl_add_u64 v[36:37], v[36:37], 3, v[8:9]
	v_lshl_add_u64 v[82:83], v[82:83], 3, v[8:9]
	v_addc_co_u32_e32 v33, vcc, 0, v33, vcc
	s_movk_i32 s3, 0xfd2
	s_waitcnt vmcnt(1) lgkmcnt(3)
	v_pk_mul_f32 v[84:85], v[86:87], v[92:93] op_sel_hi:[1,0]
	s_nop 0
	v_pk_fma_f32 v[90:91], v[68:69], v[86:87], v[84:85] op_sel:[0,0,1] op_sel_hi:[1,1,0]
	v_pk_fma_f32 v[84:85], v[68:69], v[86:87], v[84:85] op_sel:[0,0,1] op_sel_hi:[0,1,0] neg_lo:[1,0,0] neg_hi:[1,0,0]
	v_mov_b32_e32 v91, v85
	s_waitcnt lgkmcnt(2)
	v_pk_mul_f32 v[84:85], v[88:89], v[94:95] op_sel_hi:[1,0]
	s_nop 0
	v_pk_fma_f32 v[86:87], v[66:67], v[88:89], v[84:85] op_sel:[0,0,1] op_sel_hi:[1,1,0]
	v_pk_fma_f32 v[84:85], v[66:67], v[88:89], v[84:85] op_sel:[0,0,1] op_sel_hi:[0,1,0] neg_lo:[1,0,0] neg_hi:[1,0,0]
	v_mov_b32_e32 v87, v85
	v_pk_add_f32 v[84:85], v[90:91], v[86:87]
	v_pk_add_f32 v[88:89], v[90:91], v[86:87] neg_lo:[0,1] neg_hi:[0,1]
	s_waitcnt lgkmcnt(0)
	v_pk_fma_f32 v[84:85], v[84:85], 0.5, v[74:75] op_sel_hi:[1,0,1] neg_lo:[1,0,0] neg_hi:[1,0,0]
	v_pk_mul_f32 v[88:89], v[88:89], s[0:1] op_sel_hi:[1,0]
	v_pk_add_f32 v[74:75], v[74:75], v[90:91]
	v_pk_add_f32 v[96:97], v[84:85], v[88:89] op_sel:[0,1] op_sel_hi:[1,0]
	v_pk_add_f32 v[84:85], v[84:85], v[88:89] op_sel:[0,1] op_sel_hi:[1,0] neg_lo:[0,1] neg_hi:[0,1]
	v_pk_add_f32 v[74:75], v[74:75], v[86:87]
	global_store_dwordx2 v[20:21], v[74:75], off
	v_mov_b32_e32 v20, v84
	v_mov_b32_e32 v21, v97
	;; [unrolled: 1-line block ×3, first 2 shown]
	global_store_dwordx2 v[36:37], v[20:21], off
	global_store_dwordx2 v[82:83], v[96:97], off
	global_load_dwordx4 v[82:85], v[32:33], off offset:2528
	v_add_u32_e32 v20, 0x87, v138
	v_mul_hi_u32 v21, v20, s2
	v_lshrrev_b32_e32 v21, 10, v21
	v_mul_u32_u24_e32 v36, 0x546, v21
	v_sub_u32_e32 v20, v20, v36
	v_mad_u32_u24 v66, v21, s3, v20
	v_mad_u64_u32 v[20:21], s[4:5], s16, v66, 0
	v_mov_b32_e32 v36, v21
	v_mad_u64_u32 v[36:37], s[4:5], s17, v66, v[36:37]
	v_add_u32_e32 v37, 0x546, v66
	v_mad_u64_u32 v[32:33], s[4:5], s16, v37, 0
	v_mov_b32_e32 v21, v36
	v_mov_b32_e32 v36, v33
	v_mad_u64_u32 v[36:37], s[4:5], s17, v37, v[36:37]
	v_add_u32_e32 v68, 0xa8c, v66
	v_mov_b32_e32 v33, v36
	v_mad_u64_u32 v[36:37], s[4:5], s16, v68, 0
	v_mov_b32_e32 v66, v37
	v_mad_u64_u32 v[74:75], s[4:5], s17, v68, v[66:67]
	v_mov_b32_e32 v68, v93
	v_mov_b32_e32 v37, v74
	;; [unrolled: 1-line block ×3, first 2 shown]
	s_waitcnt vmcnt(4)
	v_pk_mul_f32 v[74:75], v[78:79], v[68:69] op_sel_hi:[1,0]
	v_lshl_add_u64 v[20:21], v[20:21], 3, v[8:9]
	v_pk_fma_f32 v[68:69], v[66:67], v[78:79], v[74:75] op_sel:[0,0,1] op_sel_hi:[0,1,0] neg_lo:[1,0,0] neg_hi:[1,0,0]
	v_pk_fma_f32 v[86:87], v[66:67], v[78:79], v[74:75] op_sel:[0,0,1] op_sel_hi:[1,1,0]
	v_mov_b32_e32 v68, v95
	v_mov_b32_e32 v87, v69
	;; [unrolled: 1-line block ×3, first 2 shown]
	v_pk_mul_f32 v[68:69], v[80:81], v[68:69] op_sel_hi:[1,0]
	v_lshl_add_u64 v[32:33], v[32:33], 3, v[8:9]
	v_pk_fma_f32 v[74:75], v[66:67], v[80:81], v[68:69] op_sel:[0,0,1] op_sel_hi:[1,1,0]
	v_pk_fma_f32 v[66:67], v[66:67], v[80:81], v[68:69] op_sel:[0,0,1] op_sel_hi:[0,1,0] neg_lo:[1,0,0] neg_hi:[1,0,0]
	v_mov_b32_e32 v75, v67
	v_pk_add_f32 v[66:67], v[86:87], v[74:75]
	v_pk_add_f32 v[68:69], v[86:87], v[74:75] neg_lo:[0,1] neg_hi:[0,1]
	v_pk_fma_f32 v[66:67], v[66:67], 0.5, v[64:65] op_sel_hi:[1,0,1] neg_lo:[1,0,0] neg_hi:[1,0,0]
	v_pk_mul_f32 v[68:69], v[68:69], s[0:1] op_sel_hi:[1,0]
	v_pk_add_f32 v[64:65], v[64:65], v[86:87]
	v_pk_add_f32 v[78:79], v[66:67], v[68:69] op_sel:[0,1] op_sel_hi:[1,0]
	v_pk_add_f32 v[66:67], v[66:67], v[68:69] op_sel:[0,1] op_sel_hi:[1,0] neg_lo:[0,1] neg_hi:[0,1]
	v_pk_add_f32 v[64:65], v[64:65], v[74:75]
	global_store_dwordx2 v[20:21], v[64:65], off
	v_mov_b32_e32 v20, v66
	v_mov_b32_e32 v21, v79
	global_store_dwordx2 v[32:33], v[20:21], off
	v_add_u32_e32 v20, 0x10e, v138
	v_mul_hi_u32 v21, v20, s2
	v_lshrrev_b32_e32 v21, 10, v21
	v_mul_u32_u24_e32 v32, 0x546, v21
	v_sub_u32_e32 v20, v20, v32
	v_add_co_u32_e32 v32, vcc, s1, v76
	v_mov_b32_e32 v79, v67
	s_nop 0
	v_addc_co_u32_e32 v33, vcc, 0, v77, vcc
	global_load_dwordx4 v[64:67], v[32:33], off offset:2528
	v_mad_u32_u24 v68, v21, s3, v20
	v_mad_u64_u32 v[20:21], s[4:5], s16, v68, 0
	v_lshl_add_u64 v[36:37], v[36:37], 3, v[8:9]
	v_mov_b32_e32 v32, v21
	global_store_dwordx2 v[36:37], v[78:79], off
	v_mad_u64_u32 v[32:33], s[4:5], s17, v68, v[32:33]
	v_add_u32_e32 v37, 0x546, v68
	v_mov_b32_e32 v21, v32
	v_mad_u64_u32 v[32:33], s[4:5], s16, v37, 0
	v_mov_b32_e32 v36, v33
	v_mad_u64_u32 v[36:37], s[4:5], s17, v37, v[36:37]
	v_add_u32_e32 v69, 0xa8c, v68
	v_mov_b32_e32 v33, v36
	v_mad_u64_u32 v[36:37], s[4:5], s16, v69, 0
	v_mov_b32_e32 v68, v37
	v_mad_u64_u32 v[68:69], s[4:5], s17, v69, v[68:69]
	v_mov_b32_e32 v37, v68
	s_waitcnt vmcnt(4)
	v_pk_mul_f32 v[68:69], v[82:83], v[70:71] op_sel_hi:[1,0]
	v_lshl_add_u64 v[20:21], v[20:21], 3, v[8:9]
	v_pk_fma_f32 v[74:75], v[52:53], v[82:83], v[68:69] op_sel:[0,0,1] op_sel_hi:[1,1,0]
	v_pk_fma_f32 v[68:69], v[52:53], v[82:83], v[68:69] op_sel:[0,0,1] op_sel_hi:[0,1,0] neg_lo:[1,0,0] neg_hi:[1,0,0]
	v_mov_b32_e32 v75, v69
	v_pk_mul_f32 v[68:69], v[84:85], v[24:25] op_sel_hi:[1,0]
	v_lshl_add_u64 v[32:33], v[32:33], 3, v[8:9]
	v_pk_fma_f32 v[76:77], v[50:51], v[84:85], v[68:69] op_sel:[0,0,1] op_sel_hi:[1,1,0]
	v_pk_fma_f32 v[68:69], v[50:51], v[84:85], v[68:69] op_sel:[0,0,1] op_sel_hi:[0,1,0] neg_lo:[1,0,0] neg_hi:[1,0,0]
	v_mov_b32_e32 v77, v69
	v_pk_add_f32 v[68:69], v[74:75], v[76:77]
	v_pk_add_f32 v[78:79], v[74:75], v[76:77] neg_lo:[0,1] neg_hi:[0,1]
	v_pk_fma_f32 v[68:69], v[68:69], 0.5, v[60:61] op_sel_hi:[1,0,1] neg_lo:[1,0,0] neg_hi:[1,0,0]
	v_pk_mul_f32 v[78:79], v[78:79], s[0:1] op_sel_hi:[1,0]
	v_pk_add_f32 v[60:61], v[60:61], v[74:75]
	v_pk_add_f32 v[80:81], v[68:69], v[78:79] op_sel:[0,1] op_sel_hi:[1,0]
	v_pk_add_f32 v[68:69], v[68:69], v[78:79] op_sel:[0,1] op_sel_hi:[1,0] neg_lo:[0,1] neg_hi:[0,1]
	v_pk_add_f32 v[60:61], v[60:61], v[76:77]
	global_store_dwordx2 v[20:21], v[60:61], off
	v_mov_b32_e32 v20, v68
	v_mov_b32_e32 v21, v81
	global_store_dwordx2 v[32:33], v[20:21], off
	v_add_u32_e32 v20, 0x195, v138
	v_mul_hi_u32 v21, v20, s2
	v_lshrrev_b32_e32 v21, 10, v21
	v_mul_u32_u24_e32 v24, 0x546, v21
	v_sub_u32_e32 v20, v20, v24
	v_mad_u32_u24 v50, v21, s3, v20
	v_mad_u64_u32 v[20:21], s[4:5], s16, v50, 0
	v_mov_b32_e32 v24, v21
	v_mad_u64_u32 v[32:33], s[4:5], s17, v50, v[24:25]
	v_mov_b32_e32 v21, v32
	v_add_co_u32_e32 v32, vcc, s1, v72
	v_lshl_add_u64 v[36:37], v[36:37], 3, v[8:9]
	s_nop 0
	v_addc_co_u32_e32 v33, vcc, 0, v73, vcc
	global_load_dwordx4 v[72:75], v[32:33], off offset:2528
	v_mov_b32_e32 v81, v69
	global_store_dwordx2 v[36:37], v[80:81], off
	v_add_u32_e32 v36, 0x546, v50
	v_mad_u64_u32 v[32:33], s[4:5], s16, v36, 0
	v_mov_b32_e32 v24, v33
	v_mad_u64_u32 v[36:37], s[4:5], s17, v36, v[24:25]
	v_add_u32_e32 v50, 0xa8c, v50
	v_mov_b32_e32 v33, v36
	v_mad_u64_u32 v[36:37], s[4:5], s16, v50, 0
	v_mov_b32_e32 v24, v37
	v_mad_u64_u32 v[60:61], s[4:5], s17, v50, v[24:25]
	v_mov_b32_e32 v50, v71
	v_mov_b32_e32 v37, v60
	;; [unrolled: 1-line block ×3, first 2 shown]
	s_waitcnt vmcnt(5)
	v_pk_mul_f32 v[60:61], v[64:65], v[50:51] op_sel_hi:[1,0]
	v_mov_b32_e32 v50, v25
	v_pk_fma_f32 v[68:69], v[24:25], v[64:65], v[60:61] op_sel:[0,0,1] op_sel_hi:[1,1,0]
	v_pk_fma_f32 v[52:53], v[24:25], v[64:65], v[60:61] op_sel:[0,0,1] op_sel_hi:[0,1,0] neg_lo:[1,0,0] neg_hi:[1,0,0]
	v_mov_b32_e32 v69, v53
	v_mov_b32_e32 v24, v51
	v_pk_mul_f32 v[52:53], v[66:67], v[50:51] op_sel_hi:[1,0]
	v_mov_b32_e32 v50, v51
	v_pk_fma_f32 v[24:25], v[24:25], v[66:67], v[52:53] op_sel:[0,0,1] op_sel_hi:[1,1,0]
	v_pk_fma_f32 v[50:51], v[50:51], v[66:67], v[52:53] op_sel:[0,0,1] op_sel_hi:[0,1,0] neg_lo:[1,0,0] neg_hi:[1,0,0]
	v_mov_b32_e32 v25, v51
	v_pk_add_f32 v[50:51], v[68:69], v[24:25]
	v_pk_add_f32 v[52:53], v[68:69], v[24:25] neg_lo:[0,1] neg_hi:[0,1]
	v_pk_fma_f32 v[50:51], v[50:51], 0.5, v[54:55] op_sel_hi:[1,0,1] neg_lo:[1,0,0] neg_hi:[1,0,0]
	v_pk_mul_f32 v[52:53], v[52:53], s[0:1] op_sel_hi:[1,0]
	v_lshl_add_u64 v[20:21], v[20:21], 3, v[8:9]
	v_pk_add_f32 v[60:61], v[50:51], v[52:53] op_sel:[0,1] op_sel_hi:[1,0]
	v_pk_add_f32 v[50:51], v[50:51], v[52:53] op_sel:[0,1] op_sel_hi:[1,0] neg_lo:[0,1] neg_hi:[0,1]
	v_pk_add_f32 v[52:53], v[54:55], v[68:69]
	v_lshl_add_u64 v[32:33], v[32:33], 3, v[8:9]
	v_pk_add_f32 v[24:25], v[52:53], v[24:25]
	global_store_dwordx2 v[20:21], v[24:25], off
	v_mov_b32_e32 v20, v50
	v_mov_b32_e32 v21, v61
	global_store_dwordx2 v[32:33], v[20:21], off
	v_add_u32_e32 v20, 0x21c, v138
	v_mul_hi_u32 v21, v20, s2
	v_lshrrev_b32_e32 v21, 10, v21
	v_mul_u32_u24_e32 v24, 0x546, v21
	v_sub_u32_e32 v20, v20, v24
	v_add_co_u32_e32 v24, vcc, s1, v62
	v_mov_b32_e32 v61, v51
	s_nop 0
	v_addc_co_u32_e32 v25, vcc, 0, v63, vcc
	global_load_dwordx4 v[50:53], v[24:25], off offset:2528
	v_lshl_add_u64 v[36:37], v[36:37], 3, v[8:9]
	global_store_dwordx2 v[36:37], v[60:61], off
	v_mad_u32_u24 v36, v21, s3, v20
	v_mad_u64_u32 v[20:21], s[4:5], s16, v36, 0
	v_mov_b32_e32 v24, v21
	v_mad_u64_u32 v[24:25], s[4:5], s17, v36, v[24:25]
	v_add_u32_e32 v33, 0x546, v36
	v_mov_b32_e32 v21, v24
	v_mad_u64_u32 v[24:25], s[4:5], s16, v33, 0
	v_mov_b32_e32 v32, v25
	v_mad_u64_u32 v[32:33], s[4:5], s17, v33, v[32:33]
	v_add_u32_e32 v37, 0xa8c, v36
	v_mov_b32_e32 v25, v32
	v_mad_u64_u32 v[32:33], s[4:5], s16, v37, 0
	v_mov_b32_e32 v36, v33
	v_mad_u64_u32 v[36:37], s[4:5], s17, v37, v[36:37]
	v_mov_b32_e32 v33, v36
	v_lshl_add_u64 v[20:21], v[20:21], 3, v[8:9]
	v_lshl_add_u64 v[24:25], v[24:25], 3, v[8:9]
	s_waitcnt vmcnt(5)
	v_pk_mul_f32 v[36:37], v[72:73], v[56:57] op_sel_hi:[1,0]
	v_lshl_add_u64 v[32:33], v[32:33], 3, v[8:9]
	v_pk_fma_f32 v[54:55], v[42:43], v[72:73], v[36:37] op_sel:[0,0,1] op_sel_hi:[1,1,0]
	v_pk_fma_f32 v[36:37], v[42:43], v[72:73], v[36:37] op_sel:[0,0,1] op_sel_hi:[0,1,0] neg_lo:[1,0,0] neg_hi:[1,0,0]
	v_mov_b32_e32 v55, v37
	v_pk_mul_f32 v[36:37], v[74:75], v[26:27] op_sel_hi:[1,0]
	s_nop 0
	v_pk_fma_f32 v[60:61], v[40:41], v[74:75], v[36:37] op_sel:[0,0,1] op_sel_hi:[1,1,0]
	v_pk_fma_f32 v[36:37], v[40:41], v[74:75], v[36:37] op_sel:[0,0,1] op_sel_hi:[0,1,0] neg_lo:[1,0,0] neg_hi:[1,0,0]
	v_mov_b32_e32 v61, v37
	v_pk_add_f32 v[36:37], v[54:55], v[60:61]
	v_pk_add_f32 v[62:63], v[54:55], v[60:61] neg_lo:[0,1] neg_hi:[0,1]
	v_pk_fma_f32 v[36:37], v[36:37], 0.5, v[46:47] op_sel_hi:[1,0,1] neg_lo:[1,0,0] neg_hi:[1,0,0]
	v_pk_mul_f32 v[62:63], v[62:63], s[0:1] op_sel_hi:[1,0]
	v_pk_add_f32 v[46:47], v[46:47], v[54:55]
	v_pk_add_f32 v[64:65], v[36:37], v[62:63] op_sel:[0,1] op_sel_hi:[1,0]
	v_pk_add_f32 v[36:37], v[36:37], v[62:63] op_sel:[0,1] op_sel_hi:[1,0] neg_lo:[0,1] neg_hi:[0,1]
	v_pk_add_f32 v[46:47], v[46:47], v[60:61]
	global_store_dwordx2 v[20:21], v[46:47], off
	v_mov_b32_e32 v20, v36
	v_mov_b32_e32 v21, v65
	global_store_dwordx2 v[24:25], v[20:21], off
	v_add_u32_e32 v20, 0x2a3, v138
	v_mul_hi_u32 v21, v20, s2
	v_lshrrev_b32_e32 v21, 10, v21
	v_mul_u32_u24_e32 v24, 0x546, v21
	v_sub_u32_e32 v20, v20, v24
	v_mad_u32_u24 v36, v21, s3, v20
	v_mad_u64_u32 v[20:21], s[4:5], s16, v36, 0
	v_mov_b32_e32 v24, v21
	v_mad_u64_u32 v[24:25], s[4:5], s17, v36, v[24:25]
	v_mov_b32_e32 v21, v24
	v_add_co_u32_e32 v24, vcc, s1, v58
	v_mov_b32_e32 v65, v37
	s_nop 0
	v_addc_co_u32_e32 v25, vcc, 0, v59, vcc
	global_load_dwordx4 v[58:61], v[24:25], off offset:2528
	v_mov_b32_e32 v40, v41
	global_store_dwordx2 v[32:33], v[64:65], off
	v_add_u32_e32 v32, 0x546, v36
	v_mad_u64_u32 v[24:25], s[4:5], s16, v32, 0
	v_mov_b32_e32 v26, v25
	v_mad_u64_u32 v[32:33], s[4:5], s17, v32, v[26:27]
	v_add_u32_e32 v36, 0xa8c, v36
	v_mov_b32_e32 v25, v32
	v_mad_u64_u32 v[32:33], s[4:5], s16, v36, 0
	v_mov_b32_e32 v26, v33
	v_mad_u64_u32 v[36:37], s[4:5], s17, v36, v[26:27]
	v_mov_b32_e32 v33, v36
	v_mov_b32_e32 v36, v57
	;; [unrolled: 1-line block ×3, first 2 shown]
	s_waitcnt vmcnt(5)
	v_pk_mul_f32 v[36:37], v[50:51], v[36:37] op_sel_hi:[1,0]
	v_lshl_add_u64 v[20:21], v[20:21], 3, v[8:9]
	v_pk_fma_f32 v[46:47], v[26:27], v[50:51], v[36:37] op_sel:[0,0,1] op_sel_hi:[1,1,0]
	v_pk_fma_f32 v[36:37], v[26:27], v[50:51], v[36:37] op_sel:[0,0,1] op_sel_hi:[0,1,0] neg_lo:[1,0,0] neg_hi:[1,0,0]
	v_mov_b32_e32 v36, v27
	v_mov_b32_e32 v47, v37
	;; [unrolled: 1-line block ×3, first 2 shown]
	v_pk_mul_f32 v[36:37], v[52:53], v[36:37] op_sel_hi:[1,0]
	v_lshl_add_u64 v[24:25], v[24:25], 3, v[8:9]
	v_pk_fma_f32 v[26:27], v[26:27], v[52:53], v[36:37] op_sel:[0,0,1] op_sel_hi:[1,1,0]
	v_pk_fma_f32 v[36:37], v[40:41], v[52:53], v[36:37] op_sel:[0,0,1] op_sel_hi:[0,1,0] neg_lo:[1,0,0] neg_hi:[1,0,0]
	v_mov_b32_e32 v27, v37
	v_pk_add_f32 v[36:37], v[46:47], v[26:27]
	v_pk_add_f32 v[40:41], v[46:47], v[26:27] neg_lo:[0,1] neg_hi:[0,1]
	v_pk_fma_f32 v[36:37], v[36:37], 0.5, v[38:39] op_sel_hi:[1,0,1] neg_lo:[1,0,0] neg_hi:[1,0,0]
	v_pk_mul_f32 v[40:41], v[40:41], s[0:1] op_sel_hi:[1,0]
	v_pk_add_f32 v[38:39], v[38:39], v[46:47]
	v_pk_add_f32 v[42:43], v[36:37], v[40:41] op_sel:[0,1] op_sel_hi:[1,0]
	v_pk_add_f32 v[36:37], v[36:37], v[40:41] op_sel:[0,1] op_sel_hi:[1,0] neg_lo:[0,1] neg_hi:[0,1]
	v_pk_add_f32 v[26:27], v[38:39], v[26:27]
	global_store_dwordx2 v[20:21], v[26:27], off
	v_mov_b32_e32 v20, v36
	v_mov_b32_e32 v21, v43
	global_store_dwordx2 v[24:25], v[20:21], off
	v_add_u32_e32 v20, 0x32a, v138
	v_mul_hi_u32 v21, v20, s2
	v_lshrrev_b32_e32 v21, 10, v21
	v_mul_u32_u24_e32 v24, 0x546, v21
	v_sub_u32_e32 v20, v20, v24
	v_add_co_u32_e32 v24, vcc, s1, v48
	v_mad_u32_u24 v38, v21, s3, v20
	s_nop 0
	v_addc_co_u32_e32 v25, vcc, 0, v49, vcc
	global_load_dwordx4 v[24:27], v[24:25], off offset:2528
	v_lshl_add_u64 v[32:33], v[32:33], 3, v[8:9]
	v_mov_b32_e32 v43, v37
	v_mad_u64_u32 v[20:21], s[4:5], s16, v38, 0
	global_store_dwordx2 v[32:33], v[42:43], off
	v_mov_b32_e32 v32, v21
	v_mad_u64_u32 v[32:33], s[4:5], s17, v38, v[32:33]
	v_add_u32_e32 v37, 0x546, v38
	v_mov_b32_e32 v21, v32
	v_mad_u64_u32 v[32:33], s[4:5], s16, v37, 0
	v_mov_b32_e32 v36, v33
	v_mad_u64_u32 v[36:37], s[4:5], s17, v37, v[36:37]
	v_add_u32_e32 v39, 0xa8c, v38
	v_mov_b32_e32 v33, v36
	v_mad_u64_u32 v[36:37], s[4:5], s16, v39, 0
	v_mov_b32_e32 v38, v37
	v_mad_u64_u32 v[38:39], s[4:5], s17, v39, v[38:39]
	v_mov_b32_e32 v37, v38
	v_lshl_add_u64 v[20:21], v[20:21], 3, v[8:9]
	v_lshl_add_u64 v[32:33], v[32:33], 3, v[8:9]
	;; [unrolled: 1-line block ×3, first 2 shown]
	s_waitcnt vmcnt(5)
	v_pk_mul_f32 v[38:39], v[58:59], v[30:31] op_sel_hi:[1,0]
	s_nop 0
	v_pk_fma_f32 v[40:41], v[16:17], v[58:59], v[38:39] op_sel:[0,0,1] op_sel_hi:[1,1,0]
	v_pk_fma_f32 v[38:39], v[16:17], v[58:59], v[38:39] op_sel:[0,0,1] op_sel_hi:[0,1,0] neg_lo:[1,0,0] neg_hi:[1,0,0]
	v_mov_b32_e32 v41, v39
	v_pk_mul_f32 v[38:39], v[60:61], v[28:29] op_sel_hi:[1,0]
	s_nop 0
	v_pk_fma_f32 v[42:43], v[14:15], v[60:61], v[38:39] op_sel:[0,0,1] op_sel_hi:[1,1,0]
	v_pk_fma_f32 v[38:39], v[14:15], v[60:61], v[38:39] op_sel:[0,0,1] op_sel_hi:[0,1,0] neg_lo:[1,0,0] neg_hi:[1,0,0]
	v_mov_b32_e32 v43, v39
	v_pk_add_f32 v[38:39], v[40:41], v[42:43]
	v_pk_add_f32 v[46:47], v[40:41], v[42:43] neg_lo:[0,1] neg_hi:[0,1]
	v_pk_fma_f32 v[38:39], v[38:39], 0.5, v[34:35] op_sel_hi:[1,0,1] neg_lo:[1,0,0] neg_hi:[1,0,0]
	v_pk_mul_f32 v[46:47], v[46:47], s[0:1] op_sel_hi:[1,0]
	v_pk_add_f32 v[34:35], v[34:35], v[40:41]
	v_add_u32_e32 v14, 0x3b1, v138
	v_pk_add_f32 v[48:49], v[38:39], v[46:47] op_sel:[0,1] op_sel_hi:[1,0]
	v_pk_add_f32 v[38:39], v[38:39], v[46:47] op_sel:[0,1] op_sel_hi:[1,0] neg_lo:[0,1] neg_hi:[0,1]
	v_pk_add_f32 v[34:35], v[34:35], v[42:43]
	v_mul_hi_u32 v16, v14, s2
	global_store_dwordx2 v[20:21], v[34:35], off
	v_mov_b32_e32 v20, v38
	v_mov_b32_e32 v21, v49
	v_lshrrev_b32_e32 v16, 10, v16
	global_store_dwordx2 v[32:33], v[20:21], off
	v_mul_u32_u24_e32 v20, 0x546, v16
	v_sub_u32_e32 v14, v14, v20
	v_mad_u32_u24 v16, v16, s3, v14
	v_mad_u64_u32 v[20:21], s[4:5], s16, v16, 0
	v_mov_b32_e32 v14, v21
	v_mad_u64_u32 v[32:33], s[4:5], s17, v16, v[14:15]
	v_mov_b32_e32 v21, v32
	v_add_co_u32_e32 v32, vcc, s1, v44
	v_mov_b32_e32 v49, v39
	s_nop 0
	v_addc_co_u32_e32 v33, vcc, 0, v45, vcc
	global_load_dwordx4 v[32:35], v[32:33], off offset:2528
	v_add_u32_e32 v28, 0x546, v16
	global_store_dwordx2 v[36:37], v[48:49], off
	v_mad_u64_u32 v[36:37], s[4:5], s16, v28, 0
	v_mov_b32_e32 v14, v37
	v_mad_u64_u32 v[38:39], s[4:5], s17, v28, v[14:15]
	v_add_u32_e32 v16, 0xa8c, v16
	v_mov_b32_e32 v37, v38
	v_mad_u64_u32 v[38:39], s[4:5], s16, v16, 0
	v_mov_b32_e32 v14, v39
	v_mad_u64_u32 v[40:41], s[4:5], s17, v16, v[14:15]
	v_mov_b32_e32 v16, v31
	v_mov_b32_e32 v14, v17
	s_waitcnt vmcnt(5)
	v_pk_mul_f32 v[30:31], v[24:25], v[16:17] op_sel_hi:[1,0]
	v_mov_b32_e32 v39, v40
	v_pk_fma_f32 v[16:17], v[14:15], v[24:25], v[30:31] op_sel:[0,0,1] op_sel_hi:[0,1,0] neg_lo:[1,0,0] neg_hi:[1,0,0]
	v_pk_fma_f32 v[40:41], v[14:15], v[24:25], v[30:31] op_sel:[0,0,1] op_sel_hi:[1,1,0]
	v_mov_b32_e32 v16, v29
	v_mov_b32_e32 v41, v17
	;; [unrolled: 1-line block ×3, first 2 shown]
	v_pk_mul_f32 v[16:17], v[26:27], v[16:17] op_sel_hi:[1,0]
	v_lshl_add_u64 v[20:21], v[20:21], 3, v[8:9]
	v_pk_fma_f32 v[24:25], v[14:15], v[26:27], v[16:17] op_sel:[0,0,1] op_sel_hi:[1,1,0]
	v_pk_fma_f32 v[14:15], v[14:15], v[26:27], v[16:17] op_sel:[0,0,1] op_sel_hi:[0,1,0] neg_lo:[1,0,0] neg_hi:[1,0,0]
	v_mov_b32_e32 v25, v15
	v_pk_add_f32 v[14:15], v[40:41], v[24:25]
	v_pk_add_f32 v[16:17], v[40:41], v[24:25] neg_lo:[0,1] neg_hi:[0,1]
	v_pk_fma_f32 v[14:15], v[14:15], 0.5, v[12:13] op_sel_hi:[1,0,1] neg_lo:[1,0,0] neg_hi:[1,0,0]
	v_pk_mul_f32 v[16:17], v[16:17], s[0:1] op_sel_hi:[1,0]
	v_pk_add_f32 v[12:13], v[12:13], v[40:41]
	v_pk_add_f32 v[26:27], v[14:15], v[16:17] op_sel:[0,1] op_sel_hi:[1,0]
	v_pk_add_f32 v[14:15], v[14:15], v[16:17] op_sel:[0,1] op_sel_hi:[1,0] neg_lo:[0,1] neg_hi:[0,1]
	v_pk_add_f32 v[12:13], v[12:13], v[24:25]
	v_lshl_add_u64 v[36:37], v[36:37], 3, v[8:9]
	global_store_dwordx2 v[20:21], v[12:13], off
	v_mov_b32_e32 v12, v14
	v_mov_b32_e32 v13, v27
	v_add_u32_e32 v16, 0x438, v138
	global_store_dwordx2 v[36:37], v[12:13], off
	v_mul_hi_u32 v12, v16, s2
	v_lshrrev_b32_e32 v17, 10, v12
	v_add_co_u32_e32 v12, vcc, s1, v22
	v_mov_b32_e32 v27, v15
	s_nop 0
	v_addc_co_u32_e32 v13, vcc, 0, v23, vcc
	global_load_dwordx4 v[12:15], v[12:13], off offset:2528
	v_mul_u32_u24_e32 v20, 0x546, v17
	v_sub_u32_e32 v16, v16, v20
	v_mad_u32_u24 v24, v17, s3, v16
	v_mad_u64_u32 v[16:17], s[4:5], s16, v24, 0
	v_mov_b32_e32 v20, v17
	v_mad_u64_u32 v[20:21], s[4:5], s17, v24, v[20:21]
	v_add_u32_e32 v23, 0x546, v24
	v_mov_b32_e32 v17, v20
	v_mad_u64_u32 v[20:21], s[4:5], s16, v23, 0
	v_mov_b32_e32 v22, v21
	v_mad_u64_u32 v[22:23], s[4:5], s17, v23, v[22:23]
	v_add_u32_e32 v25, 0xa8c, v24
	v_mov_b32_e32 v21, v22
	v_mad_u64_u32 v[22:23], s[4:5], s16, v25, 0
	v_mov_b32_e32 v24, v23
	v_mad_u64_u32 v[24:25], s[4:5], s17, v25, v[24:25]
	v_lshl_add_u64 v[38:39], v[38:39], 3, v[8:9]
	v_mov_b32_e32 v23, v24
	global_store_dwordx2 v[38:39], v[26:27], off
	v_lshl_add_u64 v[16:17], v[16:17], 3, v[8:9]
	v_lshl_add_u64 v[20:21], v[20:21], 3, v[8:9]
	;; [unrolled: 1-line block ×3, first 2 shown]
	s_waitcnt vmcnt(5)
	v_pk_mul_f32 v[24:25], v[32:33], v[18:19] op_sel_hi:[1,0]
	s_nop 0
	v_pk_fma_f32 v[26:27], v[4:5], v[32:33], v[24:25] op_sel:[0,0,1] op_sel_hi:[1,1,0]
	v_pk_fma_f32 v[24:25], v[4:5], v[32:33], v[24:25] op_sel:[0,0,1] op_sel_hi:[0,1,0] neg_lo:[1,0,0] neg_hi:[1,0,0]
	v_mov_b32_e32 v27, v25
	v_pk_mul_f32 v[24:25], v[34:35], v[10:11] op_sel_hi:[1,0]
	s_nop 0
	v_pk_fma_f32 v[28:29], v[2:3], v[34:35], v[24:25] op_sel:[0,0,1] op_sel_hi:[1,1,0]
	v_pk_fma_f32 v[24:25], v[2:3], v[34:35], v[24:25] op_sel:[0,0,1] op_sel_hi:[0,1,0] neg_lo:[1,0,0] neg_hi:[1,0,0]
	v_mov_b32_e32 v29, v25
	v_pk_add_f32 v[24:25], v[26:27], v[28:29]
	v_pk_add_f32 v[30:31], v[26:27], v[28:29] neg_lo:[0,1] neg_hi:[0,1]
	v_pk_fma_f32 v[24:25], v[24:25], 0.5, v[6:7] op_sel_hi:[1,0,1] neg_lo:[1,0,0] neg_hi:[1,0,0]
	v_pk_mul_f32 v[30:31], v[30:31], s[0:1] op_sel_hi:[1,0]
	v_pk_add_f32 v[6:7], v[6:7], v[26:27]
	v_add_u32_e32 v2, 0x4bf, v138
	v_pk_add_f32 v[32:33], v[24:25], v[30:31] op_sel:[0,1] op_sel_hi:[1,0]
	v_pk_add_f32 v[24:25], v[24:25], v[30:31] op_sel:[0,1] op_sel_hi:[1,0] neg_lo:[0,1] neg_hi:[0,1]
	v_pk_add_f32 v[6:7], v[6:7], v[28:29]
	v_mul_hi_u32 v4, v2, s2
	global_store_dwordx2 v[16:17], v[6:7], off
	v_mov_b32_e32 v6, v24
	v_mov_b32_e32 v7, v33
	v_lshrrev_b32_e32 v4, 10, v4
	global_store_dwordx2 v[20:21], v[6:7], off
	v_mul_u32_u24_e32 v6, 0x546, v4
	v_sub_u32_e32 v2, v2, v6
	v_mad_u32_u24 v4, v4, s3, v2
	v_mad_u64_u32 v[6:7], s[2:3], s16, v4, 0
	v_mov_b32_e32 v2, v7
	v_mad_u64_u32 v[16:17], s[2:3], s17, v4, v[2:3]
	v_add_u32_e32 v10, 0x546, v4
	v_mov_b32_e32 v7, v16
	v_mad_u64_u32 v[16:17], s[2:3], s16, v10, 0
	v_mov_b32_e32 v2, v17
	v_mad_u64_u32 v[20:21], s[2:3], s17, v10, v[2:3]
	v_add_u32_e32 v4, 0xa8c, v4
	v_mov_b32_e32 v17, v20
	v_mad_u64_u32 v[20:21], s[2:3], s16, v4, 0
	v_mov_b32_e32 v33, v25
	v_mov_b32_e32 v2, v21
	global_store_dwordx2 v[22:23], v[32:33], off
	v_mad_u64_u32 v[22:23], s[2:3], s17, v4, v[2:3]
	v_mov_b32_e32 v4, v19
	v_mov_b32_e32 v2, v5
	s_waitcnt vmcnt(4)
	v_pk_mul_f32 v[18:19], v[12:13], v[4:5] op_sel_hi:[1,0]
	v_mov_b32_e32 v21, v22
	v_pk_fma_f32 v[4:5], v[2:3], v[12:13], v[18:19] op_sel:[0,0,1] op_sel_hi:[0,1,0] neg_lo:[1,0,0] neg_hi:[1,0,0]
	v_lshl_add_u64 v[6:7], v[6:7], 3, v[8:9]
	v_lshl_add_u64 v[16:17], v[16:17], 3, v[8:9]
	;; [unrolled: 1-line block ×3, first 2 shown]
	v_pk_fma_f32 v[20:21], v[2:3], v[12:13], v[18:19] op_sel:[0,0,1] op_sel_hi:[1,1,0]
	v_mov_b32_e32 v4, v11
	v_mov_b32_e32 v21, v5
	;; [unrolled: 1-line block ×3, first 2 shown]
	v_pk_mul_f32 v[4:5], v[14:15], v[4:5] op_sel_hi:[1,0]
	s_nop 0
	v_pk_fma_f32 v[10:11], v[2:3], v[14:15], v[4:5] op_sel:[0,0,1] op_sel_hi:[1,1,0]
	v_pk_fma_f32 v[2:3], v[2:3], v[14:15], v[4:5] op_sel:[0,0,1] op_sel_hi:[0,1,0] neg_lo:[1,0,0] neg_hi:[1,0,0]
	v_mov_b32_e32 v11, v3
	v_pk_add_f32 v[2:3], v[20:21], v[10:11]
	v_pk_add_f32 v[4:5], v[20:21], v[10:11] neg_lo:[0,1] neg_hi:[0,1]
	v_pk_fma_f32 v[2:3], v[2:3], 0.5, v[0:1] op_sel_hi:[1,0,1] neg_lo:[1,0,0] neg_hi:[1,0,0]
	v_pk_mul_f32 v[4:5], v[4:5], s[0:1] op_sel_hi:[1,0]
	v_pk_add_f32 v[0:1], v[0:1], v[20:21]
	v_pk_add_f32 v[12:13], v[2:3], v[4:5] op_sel:[0,1] op_sel_hi:[1,0]
	v_pk_add_f32 v[2:3], v[2:3], v[4:5] op_sel:[0,1] op_sel_hi:[1,0] neg_lo:[0,1] neg_hi:[0,1]
	v_pk_add_f32 v[0:1], v[0:1], v[10:11]
	global_store_dwordx2 v[6:7], v[0:1], off
	v_mov_b32_e32 v0, v2
	v_mov_b32_e32 v1, v13
	;; [unrolled: 1-line block ×3, first 2 shown]
	global_store_dwordx2 v[16:17], v[0:1], off
	global_store_dwordx2 v[8:9], v[12:13], off
.LBB0_15:
	s_endpgm
	.section	.rodata,"a",@progbits
	.p2align	6, 0x0
	.amdhsa_kernel fft_rtc_back_len4050_factors_10_5_3_3_3_3_wgs_135_tpt_135_halfLds_sp_op_CI_CI_sbrr_dirReg
		.amdhsa_group_segment_fixed_size 0
		.amdhsa_private_segment_fixed_size 0
		.amdhsa_kernarg_size 104
		.amdhsa_user_sgpr_count 2
		.amdhsa_user_sgpr_dispatch_ptr 0
		.amdhsa_user_sgpr_queue_ptr 0
		.amdhsa_user_sgpr_kernarg_segment_ptr 1
		.amdhsa_user_sgpr_dispatch_id 0
		.amdhsa_user_sgpr_kernarg_preload_length 0
		.amdhsa_user_sgpr_kernarg_preload_offset 0
		.amdhsa_user_sgpr_private_segment_size 0
		.amdhsa_uses_dynamic_stack 0
		.amdhsa_enable_private_segment 0
		.amdhsa_system_sgpr_workgroup_id_x 1
		.amdhsa_system_sgpr_workgroup_id_y 0
		.amdhsa_system_sgpr_workgroup_id_z 0
		.amdhsa_system_sgpr_workgroup_info 0
		.amdhsa_system_vgpr_workitem_id 0
		.amdhsa_next_free_vgpr 153
		.amdhsa_next_free_sgpr 32
		.amdhsa_accum_offset 156
		.amdhsa_reserve_vcc 1
		.amdhsa_float_round_mode_32 0
		.amdhsa_float_round_mode_16_64 0
		.amdhsa_float_denorm_mode_32 3
		.amdhsa_float_denorm_mode_16_64 3
		.amdhsa_dx10_clamp 1
		.amdhsa_ieee_mode 1
		.amdhsa_fp16_overflow 0
		.amdhsa_tg_split 0
		.amdhsa_exception_fp_ieee_invalid_op 0
		.amdhsa_exception_fp_denorm_src 0
		.amdhsa_exception_fp_ieee_div_zero 0
		.amdhsa_exception_fp_ieee_overflow 0
		.amdhsa_exception_fp_ieee_underflow 0
		.amdhsa_exception_fp_ieee_inexact 0
		.amdhsa_exception_int_div_zero 0
	.end_amdhsa_kernel
	.text
.Lfunc_end0:
	.size	fft_rtc_back_len4050_factors_10_5_3_3_3_3_wgs_135_tpt_135_halfLds_sp_op_CI_CI_sbrr_dirReg, .Lfunc_end0-fft_rtc_back_len4050_factors_10_5_3_3_3_3_wgs_135_tpt_135_halfLds_sp_op_CI_CI_sbrr_dirReg
                                        ; -- End function
	.section	.AMDGPU.csdata,"",@progbits
; Kernel info:
; codeLenInByte = 21792
; NumSgprs: 38
; NumVgprs: 153
; NumAgprs: 0
; TotalNumVgprs: 153
; ScratchSize: 0
; MemoryBound: 0
; FloatMode: 240
; IeeeMode: 1
; LDSByteSize: 0 bytes/workgroup (compile time only)
; SGPRBlocks: 4
; VGPRBlocks: 19
; NumSGPRsForWavesPerEU: 38
; NumVGPRsForWavesPerEU: 153
; AccumOffset: 156
; Occupancy: 3
; WaveLimiterHint : 1
; COMPUTE_PGM_RSRC2:SCRATCH_EN: 0
; COMPUTE_PGM_RSRC2:USER_SGPR: 2
; COMPUTE_PGM_RSRC2:TRAP_HANDLER: 0
; COMPUTE_PGM_RSRC2:TGID_X_EN: 1
; COMPUTE_PGM_RSRC2:TGID_Y_EN: 0
; COMPUTE_PGM_RSRC2:TGID_Z_EN: 0
; COMPUTE_PGM_RSRC2:TIDIG_COMP_CNT: 0
; COMPUTE_PGM_RSRC3_GFX90A:ACCUM_OFFSET: 38
; COMPUTE_PGM_RSRC3_GFX90A:TG_SPLIT: 0
	.text
	.p2alignl 6, 3212836864
	.fill 256, 4, 3212836864
	.type	__hip_cuid_94ba0d68e9dda745,@object ; @__hip_cuid_94ba0d68e9dda745
	.section	.bss,"aw",@nobits
	.globl	__hip_cuid_94ba0d68e9dda745
__hip_cuid_94ba0d68e9dda745:
	.byte	0                               ; 0x0
	.size	__hip_cuid_94ba0d68e9dda745, 1

	.ident	"AMD clang version 19.0.0git (https://github.com/RadeonOpenCompute/llvm-project roc-6.4.0 25133 c7fe45cf4b819c5991fe208aaa96edf142730f1d)"
	.section	".note.GNU-stack","",@progbits
	.addrsig
	.addrsig_sym __hip_cuid_94ba0d68e9dda745
	.amdgpu_metadata
---
amdhsa.kernels:
  - .agpr_count:     0
    .args:
      - .actual_access:  read_only
        .address_space:  global
        .offset:         0
        .size:           8
        .value_kind:     global_buffer
      - .offset:         8
        .size:           8
        .value_kind:     by_value
      - .actual_access:  read_only
        .address_space:  global
        .offset:         16
        .size:           8
        .value_kind:     global_buffer
      - .actual_access:  read_only
        .address_space:  global
        .offset:         24
        .size:           8
        .value_kind:     global_buffer
      - .actual_access:  read_only
        .address_space:  global
        .offset:         32
        .size:           8
        .value_kind:     global_buffer
      - .offset:         40
        .size:           8
        .value_kind:     by_value
      - .actual_access:  read_only
        .address_space:  global
        .offset:         48
        .size:           8
        .value_kind:     global_buffer
      - .actual_access:  read_only
        .address_space:  global
        .offset:         56
        .size:           8
        .value_kind:     global_buffer
      - .offset:         64
        .size:           4
        .value_kind:     by_value
      - .actual_access:  read_only
        .address_space:  global
        .offset:         72
        .size:           8
        .value_kind:     global_buffer
      - .actual_access:  read_only
        .address_space:  global
        .offset:         80
        .size:           8
        .value_kind:     global_buffer
      - .actual_access:  read_only
        .address_space:  global
        .offset:         88
        .size:           8
        .value_kind:     global_buffer
      - .actual_access:  write_only
        .address_space:  global
        .offset:         96
        .size:           8
        .value_kind:     global_buffer
    .group_segment_fixed_size: 0
    .kernarg_segment_align: 8
    .kernarg_segment_size: 104
    .language:       OpenCL C
    .language_version:
      - 2
      - 0
    .max_flat_workgroup_size: 135
    .name:           fft_rtc_back_len4050_factors_10_5_3_3_3_3_wgs_135_tpt_135_halfLds_sp_op_CI_CI_sbrr_dirReg
    .private_segment_fixed_size: 0
    .sgpr_count:     38
    .sgpr_spill_count: 0
    .symbol:         fft_rtc_back_len4050_factors_10_5_3_3_3_3_wgs_135_tpt_135_halfLds_sp_op_CI_CI_sbrr_dirReg.kd
    .uniform_work_group_size: 1
    .uses_dynamic_stack: false
    .vgpr_count:     153
    .vgpr_spill_count: 0
    .wavefront_size: 64
amdhsa.target:   amdgcn-amd-amdhsa--gfx950
amdhsa.version:
  - 1
  - 2
...

	.end_amdgpu_metadata
